;; amdgpu-corpus repo=ROCm/rocFFT kind=compiled arch=gfx1201 opt=O3
	.text
	.amdgcn_target "amdgcn-amd-amdhsa--gfx1201"
	.amdhsa_code_object_version 6
	.protected	bluestein_single_back_len224_dim1_dp_op_CI_CI ; -- Begin function bluestein_single_back_len224_dim1_dp_op_CI_CI
	.globl	bluestein_single_back_len224_dim1_dp_op_CI_CI
	.p2align	8
	.type	bluestein_single_back_len224_dim1_dp_op_CI_CI,@function
bluestein_single_back_len224_dim1_dp_op_CI_CI: ; @bluestein_single_back_len224_dim1_dp_op_CI_CI
; %bb.0:
	s_load_b128 s[16:19], s[0:1], 0x28
	v_lshrrev_b32_e32 v56, 4, v0
	v_mov_b32_e32 v101, 0
	s_mov_b32 s2, exec_lo
	s_delay_alu instid0(VALU_DEP_2) | instskip(SKIP_1) | instid1(VALU_DEP_1)
	v_lshl_or_b32 v100, ttmp9, 2, v56
	s_wait_kmcnt 0x0
	v_cmpx_gt_u64_e64 s[16:17], v[100:101]
	s_cbranch_execz .LBB0_2
; %bb.1:
	s_clause 0x1
	s_load_b128 s[4:7], s[0:1], 0x18
	s_load_b128 s[8:11], s[0:1], 0x0
	v_and_b32_e32 v199, 15, v0
	v_mul_u32_u24_e32 v156, 0xe0, v56
	s_mov_b32 s23, 0xbfe11646
	s_mov_b32 s22, 0xe976ee23
	;; [unrolled: 1-line block ×13, first 2 shown]
	s_load_b64 s[0:1], s[0:1], 0x38
	v_lshlrev_b32_e32 v202, 4, v199
	s_wait_kmcnt 0x0
	s_load_b128 s[12:15], s[4:5], 0x0
	s_delay_alu instid0(VALU_DEP_1)
	v_lshl_or_b32 v200, v156, 4, v202
	s_wait_kmcnt 0x0
	v_mad_co_u64_u32 v[0:1], null, s14, v100, 0
	v_mad_co_u64_u32 v[2:3], null, s12, v199, 0
	s_lshl_b64 s[2:3], s[12:13], 9
	s_mul_i32 s4, s13, 0xfffff500
	s_mov_b32 s14, 0x37c3f68c
	s_sub_co_i32 s4, s4, s12
	s_delay_alu instid0(VALU_DEP_1) | instskip(SKIP_1) | instid1(VALU_DEP_1)
	v_mad_co_u64_u32 v[4:5], null, s15, v100, v[1:2]
	s_mov_b32 s15, 0x3fdc38aa
	v_mad_co_u64_u32 v[5:6], null, s13, v199, v[3:4]
	v_mov_b32_e32 v1, v4
	s_delay_alu instid0(VALU_DEP_1) | instskip(NEXT) | instid1(VALU_DEP_3)
	v_lshlrev_b64_e32 v[0:1], 4, v[0:1]
	v_mov_b32_e32 v3, v5
	s_delay_alu instid0(VALU_DEP_2) | instskip(NEXT) | instid1(VALU_DEP_2)
	v_add_co_u32 v0, vcc_lo, s18, v0
	v_lshlrev_b64_e32 v[2:3], 4, v[2:3]
	s_delay_alu instid0(VALU_DEP_4)
	v_add_co_ci_u32_e32 v1, vcc_lo, s19, v1, vcc_lo
	s_mov_b32 s18, 0x429ad128
	s_mov_b32 s19, 0xbfebfeb5
	s_wait_alu 0xfffe
	s_mov_b32 s16, s18
	v_add_co_u32 v0, vcc_lo, v0, v2
	s_wait_alu 0xfffd
	v_add_co_ci_u32_e32 v1, vcc_lo, v1, v3, vcc_lo
	global_load_b128 v[6:9], v202, s[8:9]
	global_load_b128 v[16:19], v[0:1], off
	v_add_co_u32 v0, vcc_lo, v0, s2
	s_wait_alu 0xfffd
	v_add_co_ci_u32_e32 v1, vcc_lo, s3, v1, vcc_lo
	global_load_b128 v[10:13], v202, s[8:9] offset:512
	global_load_b128 v[20:23], v[0:1], off
	global_load_b128 v[32:35], v202, s[8:9] offset:256
	v_add_co_u32 v0, vcc_lo, v0, s2
	s_wait_alu 0xfffd
	v_add_co_ci_u32_e32 v1, vcc_lo, s3, v1, vcc_lo
	s_wait_loadcnt 0x4
	v_dual_mov_b32 v31, v9 :: v_dual_mov_b32 v30, v8
	v_dual_mov_b32 v29, v7 :: v_dual_mov_b32 v28, v6
	s_wait_loadcnt 0x3
	v_mul_f64_e32 v[2:3], v[18:19], v[8:9]
	v_mul_f64_e32 v[4:5], v[16:17], v[8:9]
	s_wait_loadcnt 0x1
	v_mul_f64_e32 v[6:7], v[22:23], v[12:13]
	scratch_store_b128 off, v[28:31], off offset:16 ; 16-byte Folded Spill
	global_load_b128 v[40:43], v202, s[8:9] offset:768
	global_load_b128 v[24:27], v[0:1], off
	scratch_store_b128 off, v[10:13], off   ; 16-byte Folded Spill
	v_add_co_u32 v0, vcc_lo, v0, s2
	s_wait_alu 0xfffd
	v_add_co_ci_u32_e32 v1, vcc_lo, s3, v1, vcc_lo
	v_fma_f64 v[57:58], v[16:17], v[28:29], v[2:3]
	v_mul_f64_e32 v[2:3], v[20:21], v[12:13]
	v_fma_f64 v[59:60], v[18:19], v[28:29], -v[4:5]
	v_fma_f64 v[61:62], v[20:21], v[10:11], v[6:7]
	s_clause 0x1
	global_load_b128 v[220:223], v202, s[8:9] offset:1024
	global_load_b128 v[6:9], v202, s[8:9] offset:1280
	v_fma_f64 v[63:64], v[22:23], v[10:11], -v[2:3]
	s_wait_loadcnt 0x1
	v_mul_f64_e32 v[2:3], v[26:27], v[222:223]
	v_mul_f64_e32 v[4:5], v[24:25], v[222:223]
	s_delay_alu instid0(VALU_DEP_2) | instskip(SKIP_3) | instid1(VALU_DEP_4)
	v_fma_f64 v[65:66], v[24:25], v[220:221], v[2:3]
	v_add_co_u32 v2, vcc_lo, v0, s2
	s_wait_alu 0xfffd
	v_add_co_ci_u32_e32 v3, vcc_lo, s3, v1, vcc_lo
	v_fma_f64 v[67:68], v[26:27], v[220:221], -v[4:5]
	global_load_b128 v[24:27], v[0:1], off
	s_clause 0x1
	global_load_b128 v[212:215], v202, s[8:9] offset:1536
	global_load_b128 v[10:13], v202, s[8:9] offset:1792
	global_load_b128 v[28:31], v[2:3], off
	s_clause 0x1
	global_load_b128 v[208:211], v202, s[8:9] offset:2048
	global_load_b128 v[14:17], v202, s[8:9] offset:2304
	s_wait_loadcnt 0x4
	v_mul_f64_e32 v[0:1], v[26:27], v[214:215]
	v_mul_f64_e32 v[4:5], v[24:25], v[214:215]
	s_delay_alu instid0(VALU_DEP_2) | instskip(SKIP_2) | instid1(VALU_DEP_3)
	v_fma_f64 v[69:70], v[24:25], v[212:213], v[0:1]
	s_wait_loadcnt 0x1
	v_mul_f64_e32 v[0:1], v[30:31], v[210:211]
	v_fma_f64 v[71:72], v[26:27], v[212:213], -v[4:5]
	v_mul_f64_e32 v[4:5], v[28:29], v[210:211]
	s_delay_alu instid0(VALU_DEP_3)
	v_fma_f64 v[73:74], v[28:29], v[208:209], v[0:1]
	v_add_co_u32 v0, vcc_lo, v2, s2
	s_wait_alu 0xfffd
	v_add_co_ci_u32_e32 v1, vcc_lo, s3, v3, vcc_lo
	global_load_b128 v[36:39], v[0:1], off
	s_clause 0x1
	global_load_b128 v[204:207], v202, s[8:9] offset:2560
	global_load_b128 v[18:21], v202, s[8:9] offset:2816
	v_add_co_u32 v0, vcc_lo, v0, s2
	s_wait_alu 0xfffd
	v_add_co_ci_u32_e32 v1, vcc_lo, s3, v1, vcc_lo
	global_load_b128 v[81:84], v[0:1], off
	s_clause 0x1
	global_load_b128 v[52:55], v202, s[8:9] offset:3072
	global_load_b128 v[216:219], v202, s[8:9] offset:3328
	v_mad_co_u64_u32 v[0:1], null, 0xfffff500, s12, v[0:1]
	v_fma_f64 v[75:76], v[30:31], v[208:209], -v[4:5]
	s_clause 0x3
	scratch_store_b128 off, v[32:35], off offset:32
	scratch_store_b128 off, v[40:43], off offset:48
	;; [unrolled: 1-line block ×4, first 2 shown]
	s_wait_loadcnt 0x6
	scratch_store_b128 off, v[14:17], off offset:96 ; 16-byte Folded Spill
	v_add_nc_u32_e32 v1, s4, v1
	s_mov_b32 s12, 0x36b3c0b5
	s_mov_b32 s13, 0x3fac98ee
	global_load_b128 v[85:88], v[0:1], off
	v_add_co_u32 v0, vcc_lo, v0, s2
	s_wait_alu 0xfffd
	v_add_co_ci_u32_e32 v1, vcc_lo, s3, v1, vcc_lo
	global_load_b128 v[89:92], v[0:1], off
	v_add_co_u32 v0, vcc_lo, v0, s2
	s_wait_alu 0xfffd
	v_add_co_ci_u32_e32 v1, vcc_lo, s3, v1, vcc_lo
	;; [unrolled: 4-line block ×6, first 2 shown]
	s_mov_b32 s2, 0xaaaaaaaa
	s_mov_b32 s3, 0xbff2aaaa
	v_cmp_gt_u32_e32 vcc_lo, 14, v199
	global_load_b128 v[114:117], v[0:1], off
	s_wait_loadcnt 0xb
	v_mul_f64_e32 v[2:3], v[38:39], v[206:207]
	v_mul_f64_e32 v[4:5], v[36:37], v[206:207]
	s_wait_loadcnt 0xa
	scratch_store_b128 off, v[18:21], off offset:112 ; 16-byte Folded Spill
	v_fma_f64 v[77:78], v[36:37], v[204:205], v[2:3]
	s_wait_loadcnt 0x8
	v_mul_f64_e32 v[2:3], v[83:84], v[54:55]
	v_fma_f64 v[79:80], v[38:39], v[204:205], -v[4:5]
	v_mul_f64_e32 v[4:5], v[81:82], v[54:55]
	s_wait_loadcnt 0x0
	v_mul_f64_e32 v[0:1], v[116:117], v[218:219]
	s_delay_alu instid0(VALU_DEP_4) | instskip(SKIP_1) | instid1(VALU_DEP_4)
	v_fma_f64 v[81:82], v[81:82], v[52:53], v[2:3]
	v_mul_f64_e32 v[2:3], v[87:88], v[34:35]
	v_fma_f64 v[83:84], v[83:84], v[52:53], -v[4:5]
	v_mul_f64_e32 v[4:5], v[85:86], v[34:35]
	s_delay_alu instid0(VALU_DEP_3) | instskip(SKIP_1) | instid1(VALU_DEP_3)
	v_fma_f64 v[85:86], v[85:86], v[32:33], v[2:3]
	v_mul_f64_e32 v[2:3], v[91:92], v[42:43]
	v_fma_f64 v[87:88], v[87:88], v[32:33], -v[4:5]
	v_mul_f64_e32 v[4:5], v[89:90], v[42:43]
	s_delay_alu instid0(VALU_DEP_3) | instskip(SKIP_1) | instid1(VALU_DEP_3)
	;; [unrolled: 5-line block ×6, first 2 shown]
	v_fma_f64 v[110:111], v[110:111], v[18:19], v[2:3]
	v_mul_f64_e32 v[2:3], v[114:115], v[218:219]
	v_fma_f64 v[112:113], v[112:113], v[18:19], -v[4:5]
	v_fma_f64 v[114:115], v[114:115], v[216:217], v[0:1]
	v_or_b32_e32 v0, v156, v199
	s_delay_alu instid0(VALU_DEP_1)
	v_lshlrev_b32_e32 v201, 4, v0
	ds_store_b128 v201, v[57:60]
	v_fma_f64 v[116:117], v[116:117], v[216:217], -v[2:3]
	ds_store_b128 v200, v[61:64] offset:512
	ds_store_b128 v200, v[85:88] offset:256
	;; [unrolled: 1-line block ×13, first 2 shown]
	s_load_b128 s[4:7], s[6:7], 0x0
	global_wb scope:SCOPE_SE
	s_wait_storecnt_dscnt 0x0
	s_wait_kmcnt 0x0
	s_barrier_signal -1
	s_barrier_wait -1
	global_inv scope:SCOPE_SE
	ds_load_b128 v[56:59], v200 offset:2560
	ds_load_b128 v[60:63], v200 offset:1024
	;; [unrolled: 1-line block ×4, first 2 shown]
	s_wait_dscnt 0x2
	v_add_f64_e32 v[98:99], v[60:61], v[56:57]
	v_add_f64_e32 v[96:97], v[62:63], v[58:59]
	v_add_f64_e64 v[112:113], v[60:61], -v[56:57]
	v_add_f64_e64 v[110:111], v[62:63], -v[58:59]
	ds_load_b128 v[56:59], v200 offset:2048
	ds_load_b128 v[60:63], v200 offset:1536
	;; [unrolled: 1-line block ×4, first 2 shown]
	s_wait_dscnt 0x4
	v_add_f64_e32 v[82:83], v[64:65], v[68:69]
	v_add_f64_e64 v[86:87], v[64:65], -v[68:69]
	v_add_f64_e32 v[80:81], v[66:67], v[70:71]
	v_add_f64_e64 v[84:85], v[66:67], -v[70:71]
	s_wait_dscnt 0x2
	v_add_f64_e32 v[88:89], v[60:61], v[56:57]
	v_add_f64_e32 v[90:91], v[62:63], v[58:59]
	v_add_f64_e64 v[92:93], v[56:57], -v[60:61]
	v_add_f64_e64 v[94:95], v[58:59], -v[62:63]
	ds_load_b128 v[56:59], v200 offset:3072
	ds_load_b128 v[60:63], v200 offset:512
	;; [unrolled: 1-line block ×4, first 2 shown]
	s_wait_dscnt 0x4
	v_add_f64_e32 v[64:65], v[72:73], v[76:77]
	v_add_f64_e64 v[68:69], v[76:77], -v[72:73]
	v_add_f64_e32 v[66:67], v[74:75], v[78:79]
	v_add_f64_e64 v[70:71], v[78:79], -v[74:75]
	s_wait_dscnt 0x2
	v_add_f64_e32 v[102:103], v[60:61], v[56:57]
	v_add_f64_e32 v[104:105], v[62:63], v[58:59]
	s_wait_dscnt 0x0
	v_add_f64_e32 v[72:73], v[114:115], v[118:119]
	v_add_f64_e64 v[76:77], v[114:115], -v[118:119]
	v_add_f64_e32 v[74:75], v[116:117], v[120:121]
	v_add_f64_e64 v[78:79], v[116:117], -v[120:121]
	v_add_f64_e64 v[106:107], v[60:61], -v[56:57]
	;; [unrolled: 1-line block ×3, first 2 shown]
	ds_load_b128 v[56:59], v201
	ds_load_b128 v[60:63], v200 offset:256
	global_wb scope:SCOPE_SE
	s_wait_dscnt 0x0
	s_barrier_signal -1
	s_barrier_wait -1
	global_inv scope:SCOPE_SE
	v_add_f64_e64 v[12:13], v[88:89], -v[98:99]
	v_add_f64_e64 v[16:17], v[90:91], -v[96:97]
	v_add_f64_e32 v[4:5], v[92:93], v[112:113]
	v_add_f64_e64 v[6:7], v[94:95], -v[110:111]
	v_add_f64_e32 v[10:11], v[94:95], v[110:111]
	v_add_f64_e32 v[0:1], v[98:99], v[102:103]
	v_add_f64_e64 v[14:15], v[98:99], -v[102:103]
	v_add_f64_e64 v[18:19], v[96:97], -v[104:105]
	;; [unrolled: 1-line block ×4, first 2 shown]
	v_mul_f64_e32 v[20:21], s[12:13], v[12:13]
	v_mul_f64_e32 v[22:23], s[12:13], v[16:17]
	v_add_f64_e32 v[4:5], v[4:5], v[106:107]
	v_mul_f64_e32 v[6:7], s[22:23], v[6:7]
	v_add_f64_e32 v[10:11], v[10:11], v[108:109]
	v_add_f64_e32 v[118:119], v[88:89], v[0:1]
	;; [unrolled: 1-line block ×3, first 2 shown]
	v_fma_f64 v[20:21], v[14:15], s[20:21], -v[20:21]
	v_fma_f64 v[22:23], v[18:19], s[20:21], -v[22:23]
	;; [unrolled: 1-line block ×3, first 2 shown]
	v_mul_f64_e32 v[8:9], s[18:19], v[8:9]
	v_add_f64_e32 v[56:57], v[56:57], v[118:119]
	v_add_f64_e32 v[120:121], v[90:91], v[0:1]
	;; [unrolled: 1-line block ×3, first 2 shown]
	v_fma_f64 v[30:31], v[10:11], s[14:15], v[30:31]
	s_delay_alu instid0(VALU_DEP_4) | instskip(NEXT) | instid1(VALU_DEP_4)
	v_fma_f64 v[24:25], v[118:119], s[2:3], v[56:57]
	v_add_f64_e32 v[58:59], v[58:59], v[120:121]
	s_delay_alu instid0(VALU_DEP_4) | instskip(SKIP_1) | instid1(VALU_DEP_4)
	v_add_f64_e32 v[114:115], v[64:65], v[0:1]
	v_add_f64_e32 v[0:1], v[80:81], v[74:75]
	;; [unrolled: 1-line block ×3, first 2 shown]
	s_delay_alu instid0(VALU_DEP_4) | instskip(NEXT) | instid1(VALU_DEP_4)
	v_fma_f64 v[26:27], v[120:121], s[2:3], v[58:59]
	v_add_f64_e32 v[60:61], v[60:61], v[114:115]
	s_delay_alu instid0(VALU_DEP_4)
	v_add_f64_e32 v[116:117], v[66:67], v[0:1]
	v_add_f64_e64 v[0:1], v[92:93], -v[112:113]
	v_add_f64_e64 v[96:97], v[20:21], -v[30:31]
	v_add_f64_e32 v[22:23], v[22:23], v[26:27]
	v_add_f64_e32 v[110:111], v[20:21], v[30:31]
	v_add_f64_e64 v[20:21], v[102:103], -v[88:89]
	v_mul_f64_e32 v[0:1], s[22:23], v[0:1]
	v_add_f64_e64 v[30:31], v[108:109], -v[94:95]
	v_add_f64_e32 v[62:63], v[62:63], v[116:117]
	s_delay_alu instid0(VALU_DEP_4) | instskip(NEXT) | instid1(VALU_DEP_4)
	v_mul_f64_e32 v[20:21], s[26:27], v[20:21]
	v_fma_f64 v[28:29], v[2:3], s[16:17], -v[0:1]
	v_mul_f64_e32 v[2:3], s[18:19], v[2:3]
	v_fma_f64 v[8:9], v[30:31], s[24:25], v[8:9]
	s_delay_alu instid0(VALU_DEP_4) | instskip(NEXT) | instid1(VALU_DEP_4)
	v_fma_f64 v[14:15], v[14:15], s[28:29], -v[20:21]
	v_fma_f64 v[28:29], v[4:5], s[14:15], v[28:29]
	s_delay_alu instid0(VALU_DEP_3) | instskip(NEXT) | instid1(VALU_DEP_3)
	v_fma_f64 v[8:9], v[10:11], s[14:15], v[8:9]
	v_add_f64_e32 v[14:15], v[14:15], v[24:25]
	s_delay_alu instid0(VALU_DEP_3)
	v_add_f64_e32 v[98:99], v[28:29], v[22:23]
	v_add_f64_e64 v[112:113], v[22:23], -v[28:29]
	v_add_f64_e64 v[22:23], v[104:105], -v[90:91]
	;; [unrolled: 1-line block ×3, first 2 shown]
	v_add_f64_e32 v[88:89], v[14:15], v[8:9]
	v_add_f64_e64 v[92:93], v[14:15], -v[8:9]
	v_add_f64_e64 v[14:15], v[82:83], -v[72:73]
	v_mul_f64_e32 v[22:23], s[26:27], v[22:23]
	v_fma_f64 v[2:3], v[28:29], s[24:25], v[2:3]
	v_fma_f64 v[0:1], v[28:29], s[30:31], v[0:1]
	s_delay_alu instid0(VALU_DEP_3) | instskip(NEXT) | instid1(VALU_DEP_3)
	v_fma_f64 v[18:19], v[18:19], s[28:29], -v[22:23]
	v_fma_f64 v[2:3], v[4:5], s[14:15], v[2:3]
	v_fma_f64 v[8:9], v[16:17], s[12:13], v[22:23]
	s_delay_alu instid0(VALU_DEP_4) | instskip(SKIP_2) | instid1(VALU_DEP_2)
	v_fma_f64 v[0:1], v[4:5], s[14:15], v[0:1]
	v_add_f64_e64 v[16:17], v[66:67], -v[80:81]
	v_add_f64_e32 v[18:19], v[18:19], v[26:27]
	v_mul_f64_e32 v[22:23], s[12:13], v[16:17]
	s_delay_alu instid0(VALU_DEP_2)
	v_add_f64_e64 v[90:91], v[18:19], -v[2:3]
	v_add_f64_e32 v[94:95], v[2:3], v[18:19]
	v_fma_f64 v[2:3], v[30:31], s[30:31], v[6:7]
	v_fma_f64 v[6:7], v[12:13], s[12:13], v[20:21]
	v_add_f64_e64 v[12:13], v[64:65], -v[82:83]
	v_add_f64_e64 v[18:19], v[80:81], -v[74:75]
	s_delay_alu instid0(VALU_DEP_4) | instskip(NEXT) | instid1(VALU_DEP_4)
	v_fma_f64 v[2:3], v[10:11], s[14:15], v[2:3]
	v_add_f64_e32 v[4:5], v[6:7], v[24:25]
	v_add_f64_e32 v[6:7], v[8:9], v[26:27]
	v_add_f64_e64 v[8:9], v[84:85], -v[78:79]
	v_add_f64_e32 v[10:11], v[70:71], v[84:85]
	v_mul_f64_e32 v[20:21], s[12:13], v[12:13]
	v_fma_f64 v[22:23], v[18:19], s[20:21], -v[22:23]
	v_fma_f64 v[24:25], v[114:115], s[2:3], v[60:61]
	v_fma_f64 v[26:27], v[116:117], s[2:3], v[62:63]
	v_add_f64_e32 v[102:103], v[4:5], v[2:3]
	v_add_f64_e64 v[104:105], v[6:7], -v[0:1]
	v_add_f64_e32 v[108:109], v[0:1], v[6:7]
	v_add_f64_e64 v[0:1], v[68:69], -v[86:87]
	v_add_f64_e64 v[6:7], v[70:71], -v[84:85]
	;; [unrolled: 1-line block ×4, first 2 shown]
	v_add_f64_e32 v[4:5], v[68:69], v[86:87]
	v_add_f64_e32 v[10:11], v[10:11], v[78:79]
	v_fma_f64 v[20:21], v[14:15], s[20:21], -v[20:21]
	v_add_f64_e32 v[22:23], v[22:23], v[26:27]
	v_mul_f64_e32 v[0:1], s[22:23], v[0:1]
	v_mul_f64_e32 v[6:7], s[22:23], v[6:7]
	s_mov_b32 s23, 0x3fe11646
	v_add_f64_e32 v[4:5], v[4:5], v[76:77]
	v_add_f64_e32 v[20:21], v[20:21], v[24:25]
	s_delay_alu instid0(VALU_DEP_4) | instskip(NEXT) | instid1(VALU_DEP_4)
	v_fma_f64 v[28:29], v[2:3], s[16:17], -v[0:1]
	v_fma_f64 v[30:31], v[8:9], s[16:17], -v[6:7]
	v_mul_f64_e32 v[2:3], s[18:19], v[2:3]
	v_mul_f64_e32 v[8:9], s[18:19], v[8:9]
	s_delay_alu instid0(VALU_DEP_4) | instskip(NEXT) | instid1(VALU_DEP_4)
	v_fma_f64 v[28:29], v[4:5], s[14:15], v[28:29]
	v_fma_f64 v[30:31], v[10:11], s[14:15], v[30:31]
	s_delay_alu instid0(VALU_DEP_2) | instskip(NEXT) | instid1(VALU_DEP_2)
	v_add_f64_e32 v[82:83], v[28:29], v[22:23]
	v_add_f64_e64 v[80:81], v[20:21], -v[30:31]
	v_add_f64_e32 v[84:85], v[20:21], v[30:31]
	v_add_f64_e64 v[86:87], v[22:23], -v[28:29]
	v_add_f64_e64 v[20:21], v[72:73], -v[64:65]
	;; [unrolled: 1-line block ×5, first 2 shown]
	s_delay_alu instid0(VALU_DEP_4) | instskip(NEXT) | instid1(VALU_DEP_4)
	v_mul_f64_e32 v[20:21], s[26:27], v[20:21]
	v_mul_f64_e32 v[22:23], s[26:27], v[22:23]
	s_delay_alu instid0(VALU_DEP_4) | instskip(NEXT) | instid1(VALU_DEP_4)
	v_fma_f64 v[2:3], v[28:29], s[24:25], v[2:3]
	v_fma_f64 v[8:9], v[30:31], s[24:25], v[8:9]
	;; [unrolled: 1-line block ×3, first 2 shown]
	v_fma_f64 v[14:15], v[14:15], s[28:29], -v[20:21]
	v_fma_f64 v[18:19], v[18:19], s[28:29], -v[22:23]
	v_fma_f64 v[2:3], v[4:5], s[14:15], v[2:3]
	v_fma_f64 v[8:9], v[10:11], s[14:15], v[8:9]
	;; [unrolled: 1-line block ×3, first 2 shown]
	v_add_f64_e32 v[14:15], v[14:15], v[24:25]
	v_add_f64_e32 v[18:19], v[18:19], v[26:27]
	s_delay_alu instid0(VALU_DEP_2) | instskip(NEXT) | instid1(VALU_DEP_2)
	v_add_f64_e32 v[64:65], v[14:15], v[8:9]
	v_add_f64_e64 v[66:67], v[18:19], -v[2:3]
	v_add_f64_e64 v[68:69], v[14:15], -v[8:9]
	v_add_f64_e32 v[70:71], v[2:3], v[18:19]
	v_fma_f64 v[2:3], v[30:31], s[30:31], v[6:7]
	v_fma_f64 v[6:7], v[12:13], s[12:13], v[20:21]
	;; [unrolled: 1-line block ×3, first 2 shown]
	s_delay_alu instid0(VALU_DEP_3) | instskip(NEXT) | instid1(VALU_DEP_3)
	v_fma_f64 v[2:3], v[10:11], s[14:15], v[2:3]
	v_add_f64_e32 v[4:5], v[6:7], v[24:25]
	s_delay_alu instid0(VALU_DEP_3) | instskip(SKIP_1) | instid1(VALU_DEP_2)
	v_add_f64_e32 v[6:7], v[8:9], v[26:27]
	s_mov_b32 s15, 0xbfdc38aa
	v_add_f64_e32 v[72:73], v[4:5], v[2:3]
	s_delay_alu instid0(VALU_DEP_2) | instskip(SKIP_3) | instid1(VALU_DEP_2)
	v_add_f64_e64 v[74:75], v[6:7], -v[0:1]
	v_add_f64_e32 v[78:79], v[0:1], v[6:7]
	v_mul_u32_u24_e32 v0, 7, v199
	v_add_f64_e64 v[76:77], v[4:5], -v[2:3]
	v_add_lshl_u32 v203, v156, v0, 4
	v_mad_co_u64_u32 v[0:1], null, s6, v100, 0
	ds_store_b128 v203, v[56:59]
	ds_store_b128 v203, v[102:105] offset:16
	ds_store_b128 v203, v[88:91] offset:32
	;; [unrolled: 1-line block ×6, first 2 shown]
	v_or_b32_e32 v98, 32, v199
	v_or_b32_e32 v102, 48, v199
	;; [unrolled: 1-line block ×3, first 2 shown]
	scratch_store_b64 off, v[0:1], off offset:136 ; 8-byte Folded Spill
	v_mov_b32_e32 v0, v1
	v_mul_lo_u16 v99, v98, 37
	v_mul_lo_u16 v107, v102, 37
	v_or_b32_e32 v104, 0x50, v199
	v_mul_lo_u16 v105, 0x93, v103
	v_mad_co_u64_u32 v[0:1], null, s7, v100, v[0:1]
	v_or_b32_e32 v100, 16, v199
	v_lshrrev_b16 v28, 8, v99
	v_lshrrev_b16 v30, 8, v107
	v_mul_lo_u16 v108, 0x93, v104
	v_lshrrev_b16 v32, 10, v105
	v_or_b32_e32 v106, 0x60, v199
	scratch_store_b64 off, v[0:1], off offset:128 ; 8-byte Folded Spill
	v_mul_u32_u24_e32 v0, 7, v100
	v_mul_lo_u16 v8, v28, 7
	v_lshrrev_b16 v33, 10, v108
	v_mul_lo_u16 v16, v32, 7
	v_mul_lo_u16 v109, 0x93, v106
	v_add_lshl_u32 v198, v156, v0, 4
	v_mul_lo_u16 v0, v199, 37
	ds_store_b128 v198, v[60:63]
	ds_store_b128 v198, v[72:75] offset:16
	ds_store_b128 v198, v[64:67] offset:32
	;; [unrolled: 1-line block ×6, first 2 shown]
	v_lshrrev_b16 v69, 8, v0
	v_mul_lo_u16 v68, v100, 37
	global_wb scope:SCOPE_SE
	s_wait_storecnt_dscnt 0x0
	s_barrier_signal -1
	s_barrier_wait -1
	v_mul_lo_u16 v0, v69, 7
	v_lshrrev_b16 v71, 8, v68
	global_inv scope:SCOPE_SE
	v_sub_nc_u16 v29, v98, v8
	v_mul_lo_u16 v8, v30, 7
	v_sub_nc_u16 v70, v199, v0
	v_mul_lo_u16 v0, v71, 7
	v_mul_lo_u16 v17, v33, 7
	v_sub_nc_u16 v16, v103, v16
	v_sub_nc_u16 v31, v102, v8
	v_and_b32_e32 v8, 0xff, v29
	v_sub_nc_u16 v92, v100, v0
	v_and_b32_e32 v0, 0xff, v70
	;; [unrolled: 2-line block ×3, first 2 shown]
	v_lshlrev_b32_e32 v8, 4, v8
	v_and_b32_e32 v1, 0xff, v92
	v_lshlrev_b32_e32 v0, 4, v0
	v_and_b32_e32 v34, 0xff, v16
	;; [unrolled: 2-line block ×3, first 2 shown]
	v_lshlrev_b32_e32 v1, 4, v1
	s_clause 0x1
	global_load_b128 v[60:63], v0, s[10:11]
	global_load_b128 v[56:59], v1, s[10:11]
	ds_load_b128 v[64:67], v200 offset:1792
	ds_load_b128 v[93:96], v200 offset:1536
	v_lshlrev_b32_e32 v16, 4, v34
	v_lshlrev_b32_e32 v17, 4, v35
	v_lshrrev_b16 v36, 10, v109
	s_delay_alu instid0(VALU_DEP_1) | instskip(NEXT) | instid1(VALU_DEP_1)
	v_mul_lo_u16 v24, v36, 7
	v_sub_nc_u16 v24, v106, v24
	s_delay_alu instid0(VALU_DEP_1) | instskip(NEXT) | instid1(VALU_DEP_1)
	v_and_b32_e32 v37, 0xff, v24
	v_lshlrev_b32_e32 v24, 4, v37
	s_wait_loadcnt_dscnt 0x101
	v_mul_f64_e32 v[0:1], v[66:67], v[62:63]
	v_mul_f64_e32 v[2:3], v[64:65], v[62:63]
	s_delay_alu instid0(VALU_DEP_2) | instskip(NEXT) | instid1(VALU_DEP_2)
	v_fma_f64 v[0:1], v[64:65], v[60:61], -v[0:1]
	v_fma_f64 v[2:3], v[66:67], v[60:61], v[2:3]
	ds_load_b128 v[64:67], v200 offset:2048
	ds_load_b128 v[80:83], v200 offset:2304
	s_clause 0x1
	global_load_b128 v[76:79], v8, s[10:11]
	global_load_b128 v[72:75], v9, s[10:11]
	s_wait_loadcnt_dscnt 0x201
	v_mul_f64_e32 v[4:5], v[66:67], v[58:59]
	v_mul_f64_e32 v[6:7], v[64:65], v[58:59]
	s_delay_alu instid0(VALU_DEP_2) | instskip(NEXT) | instid1(VALU_DEP_2)
	v_fma_f64 v[4:5], v[64:65], v[56:57], -v[4:5]
	v_fma_f64 v[6:7], v[66:67], v[56:57], v[6:7]
	ds_load_b128 v[64:67], v200 offset:2560
	ds_load_b128 v[88:91], v200 offset:2816
	s_wait_loadcnt_dscnt 0x102
	v_mul_f64_e32 v[8:9], v[82:83], v[78:79]
	v_mul_f64_e32 v[10:11], v[80:81], v[78:79]
	s_wait_loadcnt_dscnt 0x1
	v_mul_f64_e32 v[12:13], v[66:67], v[74:75]
	v_mul_f64_e32 v[14:15], v[64:65], v[74:75]
	s_delay_alu instid0(VALU_DEP_4) | instskip(NEXT) | instid1(VALU_DEP_4)
	v_fma_f64 v[8:9], v[80:81], v[76:77], -v[8:9]
	v_fma_f64 v[10:11], v[82:83], v[76:77], v[10:11]
	s_clause 0x1
	global_load_b128 v[84:87], v16, s[10:11]
	global_load_b128 v[80:83], v17, s[10:11]
	v_fma_f64 v[12:13], v[64:65], v[72:73], -v[12:13]
	v_fma_f64 v[14:15], v[66:67], v[72:73], v[14:15]
	ds_load_b128 v[64:67], v200 offset:3072
	ds_load_b128 v[110:113], v200 offset:3328
	s_wait_loadcnt_dscnt 0x102
	v_mul_f64_e32 v[16:17], v[90:91], v[86:87]
	v_mul_f64_e32 v[18:19], v[88:89], v[86:87]
	s_wait_loadcnt_dscnt 0x1
	v_mul_f64_e32 v[20:21], v[66:67], v[82:83]
	v_mul_f64_e32 v[22:23], v[64:65], v[82:83]
	s_delay_alu instid0(VALU_DEP_4) | instskip(NEXT) | instid1(VALU_DEP_4)
	v_fma_f64 v[16:17], v[88:89], v[84:85], -v[16:17]
	v_fma_f64 v[18:19], v[90:91], v[84:85], v[18:19]
	global_load_b128 v[88:91], v24, s[10:11]
	v_fma_f64 v[20:21], v[64:65], v[80:81], -v[20:21]
	v_fma_f64 v[22:23], v[66:67], v[80:81], v[22:23]
	s_wait_loadcnt_dscnt 0x0
	v_mul_f64_e32 v[24:25], v[112:113], v[90:91]
	v_mul_f64_e32 v[26:27], v[110:111], v[90:91]
	s_delay_alu instid0(VALU_DEP_2) | instskip(NEXT) | instid1(VALU_DEP_2)
	v_fma_f64 v[24:25], v[110:111], v[88:89], -v[24:25]
	v_fma_f64 v[26:27], v[112:113], v[88:89], v[26:27]
	ds_load_b128 v[64:67], v201
	ds_load_b128 v[110:113], v200 offset:256
	ds_load_b128 v[122:125], v200 offset:512
	;; [unrolled: 1-line block ×5, first 2 shown]
	s_wait_dscnt 0x5
	v_add_f64_e64 v[114:115], v[64:65], -v[0:1]
	v_add_f64_e64 v[116:117], v[66:67], -v[2:3]
	s_wait_dscnt 0x4
	v_add_f64_e64 v[118:119], v[110:111], -v[4:5]
	v_add_f64_e64 v[120:121], v[112:113], -v[6:7]
	;; [unrolled: 3-line block ×4, first 2 shown]
	v_mad_u16 v0, v69, 14, v70
	s_wait_dscnt 0x1
	v_add_f64_e64 v[146:147], v[138:139], -v[16:17]
	v_add_f64_e64 v[148:149], v[140:141], -v[18:19]
	s_wait_dscnt 0x0
	v_add_f64_e64 v[150:151], v[142:143], -v[20:21]
	v_add_f64_e64 v[152:153], v[144:145], -v[22:23]
	v_and_b32_e32 v0, 0xff, v0
	v_add_f64_e64 v[157:158], v[93:94], -v[24:25]
	s_delay_alu instid0(VALU_DEP_2)
	v_add_lshl_u32 v0, v156, v0, 4
	v_add_f64_e64 v[159:160], v[95:96], -v[26:27]
	scratch_store_b32 off, v0, off offset:168 ; 4-byte Folded Spill
	global_wb scope:SCOPE_SE
	s_wait_storecnt 0x0
	s_barrier_signal -1
	s_barrier_wait -1
	global_inv scope:SCOPE_SE
	v_fma_f64 v[64:65], v[64:65], 2.0, -v[114:115]
	v_fma_f64 v[66:67], v[66:67], 2.0, -v[116:117]
	;; [unrolled: 1-line block ×6, first 2 shown]
	ds_store_b128 v0, v[114:117] offset:112
	ds_store_b128 v0, v[64:67]
	v_mad_u16 v0, v71, 14, v92
	v_fma_f64 v[126:127], v[126:127], 2.0, -v[134:135]
	v_fma_f64 v[128:129], v[128:129], 2.0, -v[136:137]
	;; [unrolled: 1-line block ×4, first 2 shown]
	v_and_b32_e32 v0, 0xff, v0
	v_fma_f64 v[142:143], v[142:143], 2.0, -v[150:151]
	v_fma_f64 v[144:145], v[144:145], 2.0, -v[152:153]
	;; [unrolled: 1-line block ×4, first 2 shown]
	v_add_lshl_u32 v0, v156, v0, 4
	scratch_store_b32 off, v0, off offset:164 ; 4-byte Folded Spill
	ds_store_b128 v0, v[110:113]
	ds_store_b128 v0, v[118:121] offset:112
	v_mad_u16 v0, v28, 14, v29
	v_lshrrev_b16 v28, 9, v99
	s_delay_alu instid0(VALU_DEP_2) | instskip(NEXT) | instid1(VALU_DEP_2)
	v_and_b32_e32 v0, 0xff, v0
	v_mul_lo_u16 v8, v28, 14
	s_delay_alu instid0(VALU_DEP_2) | instskip(NEXT) | instid1(VALU_DEP_2)
	v_add_lshl_u32 v0, v156, v0, 4
	v_sub_nc_u16 v29, v98, v8
	scratch_store_b32 off, v0, off offset:160 ; 4-byte Folded Spill
	ds_store_b128 v0, v[122:125]
	ds_store_b128 v0, v[130:133] offset:112
	v_mad_u16 v0, v30, 14, v31
	v_lshrrev_b16 v30, 9, v107
	s_delay_alu instid0(VALU_DEP_2) | instskip(NEXT) | instid1(VALU_DEP_2)
	v_and_b32_e32 v0, 0xff, v0
	v_mul_lo_u16 v8, v30, 14
	s_delay_alu instid0(VALU_DEP_2) | instskip(NEXT) | instid1(VALU_DEP_2)
	v_add_lshl_u32 v0, v156, v0, 4
	v_sub_nc_u16 v31, v102, v8
	v_and_b32_e32 v8, 0xff, v29
	scratch_store_b32 off, v0, off offset:156 ; 4-byte Folded Spill
	ds_store_b128 v0, v[126:129]
	ds_store_b128 v0, v[134:137] offset:112
	v_mul_lo_u16 v0, v32, 14
	v_and_b32_e32 v9, 0xff, v31
	v_lshlrev_b32_e32 v8, 4, v8
	v_lshrrev_b16 v32, 11, v105
	s_delay_alu instid0(VALU_DEP_4) | instskip(NEXT) | instid1(VALU_DEP_4)
	v_and_b32_e32 v0, 0xffff, v0
	v_lshlrev_b32_e32 v9, 4, v9
	s_delay_alu instid0(VALU_DEP_3) | instskip(NEXT) | instid1(VALU_DEP_3)
	v_mul_lo_u16 v16, v32, 14
	v_add_nc_u32_e32 v0, v0, v34
	s_delay_alu instid0(VALU_DEP_2) | instskip(NEXT) | instid1(VALU_DEP_2)
	v_sub_nc_u16 v16, v103, v16
	v_add_lshl_u32 v0, v156, v0, 4
	s_delay_alu instid0(VALU_DEP_2)
	v_and_b32_e32 v34, 0xff, v16
	scratch_store_b32 off, v0, off offset:152 ; 4-byte Folded Spill
	ds_store_b128 v0, v[138:141]
	ds_store_b128 v0, v[146:149] offset:112
	v_mul_lo_u16 v0, v33, 14
	v_lshrrev_b16 v33, 11, v108
	v_lshlrev_b32_e32 v16, 4, v34
	s_delay_alu instid0(VALU_DEP_3) | instskip(NEXT) | instid1(VALU_DEP_3)
	v_and_b32_e32 v0, 0xffff, v0
	v_mul_lo_u16 v17, v33, 14
	s_delay_alu instid0(VALU_DEP_2) | instskip(NEXT) | instid1(VALU_DEP_2)
	v_add_nc_u32_e32 v0, v0, v35
	v_sub_nc_u16 v17, v104, v17
	s_delay_alu instid0(VALU_DEP_2) | instskip(NEXT) | instid1(VALU_DEP_2)
	v_add_lshl_u32 v0, v156, v0, 4
	v_and_b32_e32 v35, 0xff, v17
	scratch_store_b32 off, v0, off offset:148 ; 4-byte Folded Spill
	ds_store_b128 v0, v[142:145]
	ds_store_b128 v0, v[150:153] offset:112
	v_mul_lo_u16 v0, v36, 14
	v_lshlrev_b32_e32 v17, 4, v35
	v_lshrrev_b16 v36, 11, v109
	s_delay_alu instid0(VALU_DEP_3) | instskip(NEXT) | instid1(VALU_DEP_2)
	v_and_b32_e32 v0, 0xffff, v0
	v_mul_lo_u16 v24, v36, 14
	s_delay_alu instid0(VALU_DEP_2) | instskip(NEXT) | instid1(VALU_DEP_2)
	v_add_nc_u32_e32 v0, v0, v37
	v_sub_nc_u16 v24, v106, v24
	s_delay_alu instid0(VALU_DEP_2) | instskip(NEXT) | instid1(VALU_DEP_2)
	v_add_lshl_u32 v0, v156, v0, 4
	v_and_b32_e32 v37, 0xff, v24
	scratch_store_b32 off, v0, off offset:144 ; 4-byte Folded Spill
	ds_store_b128 v0, v[93:96]
	ds_store_b128 v0, v[157:160] offset:112
	v_add_co_u32 v0, s6, v199, -14
	s_wait_alu 0xf1ff
	v_add_co_ci_u32_e64 v1, null, 0, -1, s6
	global_wb scope:SCOPE_SE
	s_wait_storecnt_dscnt 0x0
	v_cndmask_b32_e32 v96, v0, v199, vcc_lo
	s_barrier_signal -1
	v_cndmask_b32_e64 v97, v1, 0, vcc_lo
	s_barrier_wait -1
	global_inv scope:SCOPE_SE
	v_lshlrev_b32_e32 v24, 4, v37
	v_lshlrev_b64_e32 v[0:1], 4, v[96:97]
	v_lshrrev_b16 v97, 9, v68
	s_delay_alu instid0(VALU_DEP_1) | instskip(NEXT) | instid1(VALU_DEP_3)
	v_mul_lo_u16 v2, v97, 14
	v_add_co_u32 v0, vcc_lo, s10, v0
	s_wait_alu 0xfffd
	s_delay_alu instid0(VALU_DEP_4) | instskip(NEXT) | instid1(VALU_DEP_3)
	v_add_co_ci_u32_e32 v1, vcc_lo, s11, v1, vcc_lo
	v_sub_nc_u16 v110, v100, v2
	v_cmp_lt_u32_e32 vcc_lo, 13, v199
	s_delay_alu instid0(VALU_DEP_2) | instskip(NEXT) | instid1(VALU_DEP_1)
	v_and_b32_e32 v2, 0xff, v110
	v_lshlrev_b32_e32 v2, 4, v2
	s_clause 0x1
	global_load_b128 v[68:71], v[0:1], off offset:112
	global_load_b128 v[64:67], v2, s[10:11] offset:112
	ds_load_b128 v[92:95], v200 offset:1792
	ds_load_b128 v[111:114], v200 offset:1536
	s_wait_loadcnt_dscnt 0x101
	v_mul_f64_e32 v[0:1], v[94:95], v[70:71]
	v_mul_f64_e32 v[2:3], v[92:93], v[70:71]
	s_delay_alu instid0(VALU_DEP_2) | instskip(NEXT) | instid1(VALU_DEP_2)
	v_fma_f64 v[0:1], v[92:93], v[68:69], -v[0:1]
	v_fma_f64 v[2:3], v[94:95], v[68:69], v[2:3]
	ds_load_b128 v[92:95], v200 offset:2048
	ds_load_b128 v[115:118], v200 offset:2304
	s_clause 0x1
	global_load_b128 v[140:143], v8, s[10:11] offset:112
	global_load_b128 v[136:139], v9, s[10:11] offset:112
	s_wait_loadcnt_dscnt 0x201
	v_mul_f64_e32 v[4:5], v[94:95], v[66:67]
	v_mul_f64_e32 v[6:7], v[92:93], v[66:67]
	s_delay_alu instid0(VALU_DEP_2) | instskip(NEXT) | instid1(VALU_DEP_2)
	v_fma_f64 v[4:5], v[92:93], v[64:65], -v[4:5]
	v_fma_f64 v[6:7], v[94:95], v[64:65], v[6:7]
	s_wait_loadcnt_dscnt 0x100
	v_mul_f64_e32 v[8:9], v[117:118], v[142:143]
	v_mul_f64_e32 v[10:11], v[115:116], v[142:143]
	s_delay_alu instid0(VALU_DEP_2) | instskip(NEXT) | instid1(VALU_DEP_2)
	v_fma_f64 v[8:9], v[115:116], v[140:141], -v[8:9]
	v_fma_f64 v[10:11], v[117:118], v[140:141], v[10:11]
	ds_load_b128 v[92:95], v200 offset:2560
	ds_load_b128 v[115:118], v200 offset:2816
	s_clause 0x1
	global_load_b128 v[148:151], v16, s[10:11] offset:112
	global_load_b128 v[144:147], v17, s[10:11] offset:112
	s_wait_loadcnt_dscnt 0x201
	v_mul_f64_e32 v[12:13], v[94:95], v[138:139]
	v_mul_f64_e32 v[14:15], v[92:93], v[138:139]
	s_delay_alu instid0(VALU_DEP_2) | instskip(NEXT) | instid1(VALU_DEP_2)
	v_fma_f64 v[12:13], v[92:93], v[136:137], -v[12:13]
	v_fma_f64 v[14:15], v[94:95], v[136:137], v[14:15]
	s_wait_loadcnt_dscnt 0x100
	v_mul_f64_e32 v[16:17], v[117:118], v[150:151]
	v_mul_f64_e32 v[18:19], v[115:116], v[150:151]
	s_delay_alu instid0(VALU_DEP_2) | instskip(NEXT) | instid1(VALU_DEP_2)
	v_fma_f64 v[16:17], v[115:116], v[148:149], -v[16:17]
	v_fma_f64 v[18:19], v[117:118], v[148:149], v[18:19]
	ds_load_b128 v[92:95], v200 offset:3072
	ds_load_b128 v[115:118], v200 offset:3328
	global_load_b128 v[152:155], v24, s[10:11] offset:112
	s_wait_loadcnt_dscnt 0x101
	v_mul_f64_e32 v[20:21], v[94:95], v[146:147]
	v_mul_f64_e32 v[22:23], v[92:93], v[146:147]
	s_delay_alu instid0(VALU_DEP_2) | instskip(NEXT) | instid1(VALU_DEP_2)
	v_fma_f64 v[20:21], v[92:93], v[144:145], -v[20:21]
	v_fma_f64 v[22:23], v[94:95], v[144:145], v[22:23]
	s_wait_loadcnt_dscnt 0x0
	v_mul_f64_e32 v[24:25], v[117:118], v[154:155]
	v_mul_f64_e32 v[26:27], v[115:116], v[154:155]
	s_delay_alu instid0(VALU_DEP_2) | instskip(NEXT) | instid1(VALU_DEP_2)
	v_fma_f64 v[24:25], v[115:116], v[152:153], -v[24:25]
	v_fma_f64 v[26:27], v[117:118], v[152:153], v[26:27]
	ds_load_b128 v[92:95], v201
	ds_load_b128 v[115:118], v200 offset:256
	ds_load_b128 v[127:130], v200 offset:512
	;; [unrolled: 1-line block ×5, first 2 shown]
	s_wait_dscnt 0x5
	v_add_f64_e64 v[119:120], v[92:93], -v[0:1]
	v_add_f64_e64 v[121:122], v[94:95], -v[2:3]
	s_wait_dscnt 0x4
	v_add_f64_e64 v[123:124], v[115:116], -v[4:5]
	v_add_f64_e64 v[125:126], v[117:118], -v[6:7]
	;; [unrolled: 3-line block ×4, first 2 shown]
	s_wait_alu 0xfffd
	v_cndmask_b32_e64 v0, 0, 28, vcc_lo
	s_wait_dscnt 0x1
	v_add_f64_e64 v[173:174], v[165:166], -v[16:17]
	v_add_f64_e64 v[175:176], v[167:168], -v[18:19]
	s_wait_dscnt 0x0
	v_add_f64_e64 v[177:178], v[169:170], -v[20:21]
	v_add_f64_e64 v[179:180], v[171:172], -v[22:23]
	v_add_nc_u32_e32 v0, v96, v0
	v_add_co_u32 v4, s6, v199, -12
	v_cmp_gt_u64_e32 vcc_lo, 28, v[100:101]
	v_add_f64_e64 v[181:182], v[111:112], -v[24:25]
	s_delay_alu instid0(VALU_DEP_4)
	v_add_lshl_u32 v0, v156, v0, 4
	v_add_f64_e64 v[183:184], v[113:114], -v[26:27]
	s_wait_alu 0xf1ff
	v_add_co_ci_u32_e64 v5, null, 0, -1, s6
	s_wait_alu 0xfffd
	v_cndmask_b32_e32 v4, v4, v100, vcc_lo
	scratch_store_b32 off, v0, off offset:196 ; 4-byte Folded Spill
	global_wb scope:SCOPE_SE
	s_wait_storecnt 0x0
	s_barrier_signal -1
	s_barrier_wait -1
	global_inv scope:SCOPE_SE
	v_cndmask_b32_e64 v5, v5, 0, vcc_lo
	v_lshrrev_b16 v17, 12, v105
	v_lshrrev_b16 v25, 12, v109
	s_delay_alu instid0(VALU_DEP_3) | instskip(NEXT) | instid1(VALU_DEP_3)
	v_lshlrev_b64_e32 v[5:6], 4, v[4:5]
	v_mul_lo_u16 v17, v17, 28
	s_delay_alu instid0(VALU_DEP_3)
	v_mul_lo_u16 v25, v25, 28
	v_fma_f64 v[92:93], v[92:93], 2.0, -v[119:120]
	v_fma_f64 v[94:95], v[94:95], 2.0, -v[121:122]
	;; [unrolled: 1-line block ×6, first 2 shown]
	ds_store_b128 v0, v[119:122] offset:224
	ds_store_b128 v0, v[92:95]
	v_mad_u16 v0, v97, 28, v110
	v_fma_f64 v[131:132], v[131:132], 2.0, -v[161:162]
	v_fma_f64 v[133:134], v[133:134], 2.0, -v[163:164]
	;; [unrolled: 1-line block ×4, first 2 shown]
	v_and_b32_e32 v0, 0xff, v0
	v_fma_f64 v[169:170], v[169:170], 2.0, -v[177:178]
	v_fma_f64 v[171:172], v[171:172], 2.0, -v[179:180]
	;; [unrolled: 1-line block ×4, first 2 shown]
	v_add_lshl_u32 v0, v156, v0, 4
	v_add_co_u32 v5, vcc_lo, s10, v5
	s_wait_alu 0xfffd
	v_add_co_ci_u32_e32 v6, vcc_lo, s11, v6, vcc_lo
	scratch_store_b32 off, v0, off offset:192 ; 4-byte Folded Spill
	ds_store_b128 v0, v[115:118]
	ds_store_b128 v0, v[123:126] offset:224
	v_mad_u16 v0, v28, 28, v29
	v_lshrrev_b16 v29, 10, v107
	v_sub_nc_u16 v17, v103, v17
	v_sub_nc_u16 v25, v106, v25
	v_cmp_lt_u64_e32 vcc_lo, 27, v[100:101]
	v_and_b32_e32 v0, 0xff, v0
	v_mul_lo_u16 v7, v29, 28
	s_delay_alu instid0(VALU_DEP_2)
	v_add_lshl_u32 v0, v156, v0, 4
	scratch_store_b32 off, v0, off offset:188 ; 4-byte Folded Spill
	ds_store_b128 v0, v[127:130]
	ds_store_b128 v0, v[157:160] offset:224
	v_mad_u16 v0, v30, 28, v31
	v_sub_nc_u16 v30, v102, v7
	v_lshrrev_b16 v31, 12, v108
	s_delay_alu instid0(VALU_DEP_3) | instskip(NEXT) | instid1(VALU_DEP_3)
	v_and_b32_e32 v0, 0xff, v0
	v_and_b32_e32 v7, 0xff, v30
	s_delay_alu instid0(VALU_DEP_3) | instskip(NEXT) | instid1(VALU_DEP_3)
	v_mul_lo_u16 v18, v31, 28
	v_add_lshl_u32 v0, v156, v0, 4
	s_delay_alu instid0(VALU_DEP_3) | instskip(NEXT) | instid1(VALU_DEP_3)
	v_lshlrev_b32_e32 v7, 4, v7
	v_sub_nc_u16 v18, v104, v18
	scratch_store_b32 off, v0, off offset:184 ; 4-byte Folded Spill
	ds_store_b128 v0, v[131:134]
	ds_store_b128 v0, v[161:164] offset:224
	v_mul_lo_u16 v0, v32, 28
	v_and_b32_e32 v32, 0xff, v17
	s_delay_alu instid0(VALU_DEP_2) | instskip(NEXT) | instid1(VALU_DEP_2)
	v_and_b32_e32 v0, 0xffff, v0
	v_lshlrev_b32_e32 v17, 4, v32
	s_delay_alu instid0(VALU_DEP_2) | instskip(SKIP_1) | instid1(VALU_DEP_2)
	v_add_nc_u32_e32 v0, v0, v34
	v_and_b32_e32 v34, 0xff, v25
	v_add_lshl_u32 v0, v156, v0, 4
	s_delay_alu instid0(VALU_DEP_2)
	v_lshlrev_b32_e32 v25, 4, v34
	scratch_store_b32 off, v0, off offset:180 ; 4-byte Folded Spill
	ds_store_b128 v0, v[165:168]
	ds_store_b128 v0, v[173:176] offset:224
	v_mul_lo_u16 v0, v33, 28
	v_and_b32_e32 v33, 0xff, v18
	s_delay_alu instid0(VALU_DEP_2) | instskip(NEXT) | instid1(VALU_DEP_2)
	v_and_b32_e32 v0, 0xffff, v0
	v_lshlrev_b32_e32 v18, 4, v33
	s_delay_alu instid0(VALU_DEP_2) | instskip(NEXT) | instid1(VALU_DEP_1)
	v_add_nc_u32_e32 v0, v0, v35
	v_add_lshl_u32 v0, v156, v0, 4
	scratch_store_b32 off, v0, off offset:176 ; 4-byte Folded Spill
	ds_store_b128 v0, v[169:172]
	ds_store_b128 v0, v[177:180] offset:224
	v_mul_lo_u16 v0, v36, 28
	s_delay_alu instid0(VALU_DEP_1) | instskip(NEXT) | instid1(VALU_DEP_1)
	v_and_b32_e32 v0, 0xffff, v0
	v_add_nc_u32_e32 v0, v0, v37
	s_delay_alu instid0(VALU_DEP_1)
	v_add_lshl_u32 v0, v156, v0, 4
	scratch_store_b32 off, v0, off offset:172 ; 4-byte Folded Spill
	ds_store_b128 v0, v[111:114]
	ds_store_b128 v0, v[181:184] offset:224
	global_wb scope:SCOPE_SE
	s_wait_storecnt_dscnt 0x0
	s_barrier_signal -1
	s_barrier_wait -1
	global_inv scope:SCOPE_SE
	s_clause 0x1
	global_load_b128 v[92:95], v202, s[10:11] offset:336
	global_load_b128 v[96:99], v202, s[10:11] offset:400
	ds_load_b128 v[110:113], v200 offset:1792
	ds_load_b128 v[132:135], v200 offset:1536
	s_wait_loadcnt_dscnt 0x101
	v_mul_f64_e32 v[2:3], v[110:111], v[94:95]
	v_mul_f64_e32 v[0:1], v[112:113], v[94:95]
	s_delay_alu instid0(VALU_DEP_2)
	v_fma_f64 v[2:3], v[112:113], v[92:93], v[2:3]
	s_clause 0x1
	global_load_b128 v[116:119], v[5:6], off offset:336
	global_load_b128 v[112:115], v7, s[10:11] offset:336
	ds_load_b128 v[120:123], v200 offset:2048
	ds_load_b128 v[124:127], v200 offset:2304
	v_fma_f64 v[0:1], v[110:111], v[92:93], -v[0:1]
	s_wait_loadcnt_dscnt 0x200
	v_mul_f64_e32 v[9:10], v[126:127], v[98:99]
	v_mul_f64_e32 v[11:12], v[124:125], v[98:99]
	s_delay_alu instid0(VALU_DEP_2) | instskip(NEXT) | instid1(VALU_DEP_2)
	v_fma_f64 v[9:10], v[124:125], v[96:97], -v[9:10]
	v_fma_f64 v[11:12], v[126:127], v[96:97], v[11:12]
	s_wait_loadcnt 0x1
	v_mul_f64_e32 v[5:6], v[122:123], v[118:119]
	v_mul_f64_e32 v[7:8], v[120:121], v[118:119]
	s_delay_alu instid0(VALU_DEP_2) | instskip(NEXT) | instid1(VALU_DEP_2)
	v_fma_f64 v[5:6], v[120:121], v[116:117], -v[5:6]
	v_fma_f64 v[7:8], v[122:123], v[116:117], v[7:8]
	ds_load_b128 v[120:123], v200 offset:2560
	ds_load_b128 v[128:131], v200 offset:2816
	s_wait_loadcnt_dscnt 0x1
	v_mul_f64_e32 v[13:14], v[122:123], v[114:115]
	v_mul_f64_e32 v[15:16], v[120:121], v[114:115]
	s_delay_alu instid0(VALU_DEP_2) | instskip(NEXT) | instid1(VALU_DEP_2)
	v_fma_f64 v[13:14], v[120:121], v[112:113], -v[13:14]
	v_fma_f64 v[15:16], v[122:123], v[112:113], v[15:16]
	s_clause 0x1
	global_load_b128 v[124:127], v17, s[10:11] offset:336
	global_load_b128 v[120:123], v18, s[10:11] offset:336
	s_wait_loadcnt_dscnt 0x100
	v_mul_f64_e32 v[17:18], v[130:131], v[126:127]
	v_mul_f64_e32 v[19:20], v[128:129], v[126:127]
	s_delay_alu instid0(VALU_DEP_2) | instskip(NEXT) | instid1(VALU_DEP_2)
	v_fma_f64 v[17:18], v[128:129], v[124:125], -v[17:18]
	v_fma_f64 v[19:20], v[130:131], v[124:125], v[19:20]
	ds_load_b128 v[128:131], v200 offset:3072
	ds_load_b128 v[157:160], v200 offset:3328
	s_wait_loadcnt_dscnt 0x1
	v_mul_f64_e32 v[21:22], v[130:131], v[122:123]
	v_mul_f64_e32 v[23:24], v[128:129], v[122:123]
	s_delay_alu instid0(VALU_DEP_2) | instskip(NEXT) | instid1(VALU_DEP_2)
	v_fma_f64 v[21:22], v[128:129], v[120:121], -v[21:22]
	v_fma_f64 v[23:24], v[130:131], v[120:121], v[23:24]
	global_load_b128 v[128:131], v25, s[10:11] offset:336
	ds_load_b128 v[103:106], v201
	ds_load_b128 v[107:110], v200 offset:256
	ds_load_b128 v[165:168], v200 offset:512
	;; [unrolled: 1-line block ×5, first 2 shown]
	global_wb scope:SCOPE_SE
	s_wait_loadcnt_dscnt 0x0
	s_barrier_signal -1
	s_barrier_wait -1
	global_inv scope:SCOPE_SE
	v_add_f64_e64 v[161:162], v[107:108], -v[5:6]
	v_add_f64_e64 v[163:164], v[109:110], -v[7:8]
	;; [unrolled: 1-line block ×8, first 2 shown]
	v_add_co_u32 v12, s6, v199, -8
	s_wait_alu 0xf1ff
	v_add_co_ci_u32_e64 v13, null, 0, -1, s6
	s_add_nc_u64 s[6:7], s[8:9], 0xe00
	v_add_f64_e64 v[224:225], v[185:186], -v[21:22]
	v_add_f64_e64 v[226:227], v[187:188], -v[23:24]
	v_fma_f64 v[107:108], v[107:108], 2.0, -v[161:162]
	v_fma_f64 v[109:110], v[109:110], 2.0, -v[163:164]
	v_fma_f64 v[165:166], v[165:166], 2.0, -v[173:174]
	v_fma_f64 v[167:168], v[167:168], 2.0, -v[175:176]
	v_fma_f64 v[169:170], v[169:170], 2.0, -v[177:178]
	v_fma_f64 v[171:172], v[171:172], 2.0, -v[179:180]
	v_fma_f64 v[181:182], v[181:182], 2.0, -v[189:190]
	v_fma_f64 v[183:184], v[183:184], 2.0, -v[191:192]
	v_fma_f64 v[185:186], v[185:186], 2.0, -v[224:225]
	v_fma_f64 v[187:188], v[187:188], 2.0, -v[226:227]
	v_mul_f64_e32 v[25:26], v[159:160], v[130:131]
	v_mul_f64_e32 v[27:28], v[157:158], v[130:131]
	s_delay_alu instid0(VALU_DEP_2) | instskip(NEXT) | instid1(VALU_DEP_2)
	v_fma_f64 v[25:26], v[157:158], v[128:129], -v[25:26]
	v_fma_f64 v[27:28], v[159:160], v[128:129], v[27:28]
	v_add_f64_e64 v[157:158], v[103:104], -v[0:1]
	v_add_f64_e64 v[159:160], v[105:106], -v[2:3]
	s_wait_alu 0xfffd
	v_cndmask_b32_e64 v0, 0, 56, vcc_lo
	s_delay_alu instid0(VALU_DEP_1) | instskip(NEXT) | instid1(VALU_DEP_1)
	v_add_nc_u32_e32 v0, v0, v4
	v_add_lshl_u32 v0, v156, v0, 4
	v_add_f64_e64 v[228:229], v[132:133], -v[25:26]
	v_add_f64_e64 v[230:231], v[134:135], -v[27:28]
	v_fma_f64 v[103:104], v[103:104], 2.0, -v[157:158]
	v_fma_f64 v[105:106], v[105:106], 2.0, -v[159:160]
	ds_store_b128 v201, v[157:160] offset:448
	ds_store_b128 v201, v[103:106]
	v_mov_b32_e32 v103, v101
	scratch_store_b32 off, v0, off offset:212 ; 4-byte Folded Spill
	v_fma_f64 v[132:133], v[132:133], 2.0, -v[228:229]
	v_fma_f64 v[134:135], v[134:135], 2.0, -v[230:231]
	v_cmp_gt_u64_e32 vcc_lo, 56, v[102:103]
	s_wait_alu 0xfffd
	v_cndmask_b32_e32 v12, v12, v102, vcc_lo
	ds_store_b128 v0, v[107:110]
	ds_store_b128 v0, v[161:164] offset:448
	ds_store_b128 v201, v[165:168] offset:960
	;; [unrolled: 1-line block ×3, first 2 shown]
	v_mad_u16 v0, v29, 56, v30
	v_cndmask_b32_e64 v13, v13, 0, vcc_lo
	s_delay_alu instid0(VALU_DEP_2) | instskip(NEXT) | instid1(VALU_DEP_2)
	v_and_b32_e32 v0, 0xff, v0
	v_lshlrev_b64_e32 v[13:14], 4, v[12:13]
	s_delay_alu instid0(VALU_DEP_2) | instskip(NEXT) | instid1(VALU_DEP_2)
	v_add_lshl_u32 v0, v156, v0, 4
	v_add_co_u32 v13, vcc_lo, s10, v13
	s_wait_alu 0xfffd
	s_delay_alu instid0(VALU_DEP_3)
	v_add_co_ci_u32_e32 v14, vcc_lo, s11, v14, vcc_lo
	scratch_store_b32 off, v0, off offset:208 ; 4-byte Folded Spill
	ds_store_b128 v0, v[169:172]
	ds_store_b128 v0, v[177:180] offset:448
	v_add_lshl_u32 v0, v156, v32, 4
	v_cmp_lt_u64_e32 vcc_lo, 55, v[102:103]
	scratch_store_b32 off, v0, off offset:204 ; 4-byte Folded Spill
	ds_store_b128 v0, v[181:184] offset:1792
	ds_store_b128 v0, v[189:192] offset:2240
	v_mul_lo_u16 v0, v31, 56
	s_delay_alu instid0(VALU_DEP_1) | instskip(NEXT) | instid1(VALU_DEP_1)
	v_and_b32_e32 v0, 0xffff, v0
	v_add_nc_u32_e32 v0, v0, v33
	s_delay_alu instid0(VALU_DEP_1)
	v_add_lshl_u32 v196, v156, v0, 4
	v_add_lshl_u32 v0, v156, v34, 4
	ds_store_b128 v196, v[185:188]
	ds_store_b128 v196, v[224:227] offset:448
	scratch_store_b32 off, v0, off offset:200 ; 4-byte Folded Spill
	ds_store_b128 v0, v[132:135] offset:2688
	ds_store_b128 v0, v[228:231] offset:3136
	global_wb scope:SCOPE_SE
	s_wait_storecnt_dscnt 0x0
	s_barrier_signal -1
	s_barrier_wait -1
	global_inv scope:SCOPE_SE
	s_clause 0x1
	global_load_b128 v[104:107], v202, s[10:11] offset:784
	global_load_b128 v[132:135], v202, s[10:11] offset:912
	ds_load_b128 v[108:111], v200 offset:1792
	ds_load_b128 v[157:160], v200 offset:1536
	global_load_b128 v[184:187], v202, s[10:11] offset:1040
	s_wait_loadcnt_dscnt 0x201
	v_mul_f64_e32 v[0:1], v[110:111], v[106:107]
	v_mul_f64_e32 v[2:3], v[108:109], v[106:107]
	s_delay_alu instid0(VALU_DEP_2) | instskip(NEXT) | instid1(VALU_DEP_2)
	v_fma_f64 v[0:1], v[108:109], v[104:105], -v[0:1]
	v_fma_f64 v[2:3], v[110:111], v[104:105], v[2:3]
	ds_load_b128 v[108:111], v200 offset:2048
	ds_load_b128 v[161:164], v200 offset:2304
	s_clause 0x3
	global_load_b128 v[176:179], v202, s[10:11] offset:1168
	global_load_b128 v[188:191], v202, s[10:11] offset:1296
	global_load_b128 v[180:183], v202, s[10:11] offset:1424
	global_load_b128 v[192:195], v[13:14], off offset:784
	s_wait_loadcnt_dscnt 0x401
	v_mul_f64_e32 v[4:5], v[110:111], v[186:187]
	v_mul_f64_e32 v[6:7], v[108:109], v[186:187]
	s_delay_alu instid0(VALU_DEP_2) | instskip(NEXT) | instid1(VALU_DEP_2)
	v_fma_f64 v[4:5], v[108:109], v[184:185], -v[4:5]
	v_fma_f64 v[6:7], v[110:111], v[184:185], v[6:7]
	s_wait_loadcnt_dscnt 0x200
	v_mul_f64_e32 v[8:9], v[163:164], v[190:191]
	v_mul_f64_e32 v[10:11], v[161:162], v[190:191]
	s_delay_alu instid0(VALU_DEP_2) | instskip(NEXT) | instid1(VALU_DEP_2)
	v_fma_f64 v[8:9], v[161:162], v[188:189], -v[8:9]
	v_fma_f64 v[10:11], v[163:164], v[188:189], v[10:11]
	ds_load_b128 v[108:111], v200 offset:2560
	ds_load_b128 v[161:164], v200 offset:2816
	s_wait_loadcnt_dscnt 0x1
	v_mul_f64_e32 v[13:14], v[110:111], v[194:195]
	v_mul_f64_e32 v[15:16], v[108:109], v[194:195]
	s_wait_dscnt 0x0
	v_mul_f64_e32 v[17:18], v[163:164], v[134:135]
	v_mul_f64_e32 v[19:20], v[161:162], v[134:135]
	s_delay_alu instid0(VALU_DEP_4) | instskip(NEXT) | instid1(VALU_DEP_4)
	v_fma_f64 v[13:14], v[108:109], v[192:193], -v[13:14]
	v_fma_f64 v[15:16], v[110:111], v[192:193], v[15:16]
	s_delay_alu instid0(VALU_DEP_4) | instskip(NEXT) | instid1(VALU_DEP_4)
	v_fma_f64 v[17:18], v[161:162], v[132:133], -v[17:18]
	v_fma_f64 v[19:20], v[163:164], v[132:133], v[19:20]
	ds_load_b128 v[108:111], v200 offset:3072
	ds_load_b128 v[161:164], v200 offset:3328
	s_wait_dscnt 0x1
	v_mul_f64_e32 v[21:22], v[110:111], v[178:179]
	v_mul_f64_e32 v[23:24], v[108:109], v[178:179]
	s_wait_dscnt 0x0
	v_mul_f64_e32 v[25:26], v[163:164], v[182:183]
	v_mul_f64_e32 v[27:28], v[161:162], v[182:183]
	s_delay_alu instid0(VALU_DEP_4) | instskip(NEXT) | instid1(VALU_DEP_4)
	v_fma_f64 v[21:22], v[108:109], v[176:177], -v[21:22]
	v_fma_f64 v[23:24], v[110:111], v[176:177], v[23:24]
	s_delay_alu instid0(VALU_DEP_4) | instskip(NEXT) | instid1(VALU_DEP_4)
	v_fma_f64 v[25:26], v[161:162], v[180:181], -v[25:26]
	v_fma_f64 v[27:28], v[163:164], v[180:181], v[27:28]
	ds_load_b128 v[108:111], v201
	ds_load_b128 v[161:164], v200 offset:256
	ds_load_b128 v[224:227], v200 offset:512
	;; [unrolled: 1-line block ×5, first 2 shown]
	global_wb scope:SCOPE_SE
	s_wait_dscnt 0x0
	s_barrier_signal -1
	s_barrier_wait -1
	global_inv scope:SCOPE_SE
	v_add_f64_e64 v[165:166], v[108:109], -v[0:1]
	v_add_f64_e64 v[167:168], v[110:111], -v[2:3]
	;; [unrolled: 1-line block ×10, first 2 shown]
	s_wait_alu 0xfffd
	v_cndmask_b32_e64 v4, 0, 0x70, vcc_lo
	v_add_f64_e64 v[252:253], v[244:245], -v[21:22]
	v_add_f64_e64 v[254:255], v[246:247], -v[23:24]
	v_add_f64_e64 v[0:1], v[157:158], -v[25:26]
	v_add_f64_e64 v[2:3], v[159:160], -v[27:28]
	v_add_nc_u32_e32 v4, v4, v12
	s_delay_alu instid0(VALU_DEP_1)
	v_add_lshl_u32 v197, v156, v4, 4
	v_fma_f64 v[108:109], v[108:109], 2.0, -v[165:166]
	v_fma_f64 v[110:111], v[110:111], 2.0, -v[167:168]
	;; [unrolled: 1-line block ×10, first 2 shown]
	ds_store_b128 v201, v[165:168] offset:896
	ds_store_b128 v201, v[108:111]
	ds_store_b128 v200, v[161:164] offset:256
	ds_store_b128 v201, v[169:172] offset:1152
	;; [unrolled: 1-line block ×4, first 2 shown]
	v_fma_f64 v[244:245], v[244:245], 2.0, -v[252:253]
	v_fma_f64 v[246:247], v[246:247], 2.0, -v[254:255]
	;; [unrolled: 1-line block ×4, first 2 shown]
	ds_store_b128 v197, v[228:231]
	ds_store_b128 v197, v[236:239] offset:896
	ds_store_b128 v201, v[240:243] offset:1920
	;; [unrolled: 1-line block ×7, first 2 shown]
	global_wb scope:SCOPE_SE
	s_wait_dscnt 0x0
	s_barrier_signal -1
	s_barrier_wait -1
	global_inv scope:SCOPE_SE
	s_clause 0x1
	global_load_b128 v[100:103], v202, s[10:11] offset:1680
	global_load_b128 v[108:111], v202, s[10:11] offset:1936
	ds_load_b128 v[0:3], v200 offset:1792
	ds_load_b128 v[224:227], v200 offset:1536
	s_wait_loadcnt_dscnt 0x101
	v_mul_f64_e32 v[4:5], v[2:3], v[102:103]
	s_delay_alu instid0(VALU_DEP_1) | instskip(SKIP_1) | instid1(VALU_DEP_1)
	v_fma_f64 v[4:5], v[0:1], v[100:101], -v[4:5]
	v_mul_f64_e32 v[0:1], v[0:1], v[102:103]
	v_fma_f64 v[6:7], v[2:3], v[100:101], v[0:1]
	ds_load_b128 v[0:3], v200 offset:2048
	ds_load_b128 v[160:163], v200 offset:2304
	s_clause 0x1
	global_load_b128 v[164:167], v202, s[10:11] offset:2192
	global_load_b128 v[156:159], v202, s[10:11] offset:2448
	s_wait_loadcnt_dscnt 0x201
	v_mul_f64_e32 v[8:9], v[2:3], v[110:111]
	s_delay_alu instid0(VALU_DEP_1) | instskip(SKIP_1) | instid1(VALU_DEP_1)
	v_fma_f64 v[8:9], v[0:1], v[108:109], -v[8:9]
	v_mul_f64_e32 v[0:1], v[0:1], v[110:111]
	v_fma_f64 v[10:11], v[2:3], v[108:109], v[0:1]
	s_wait_loadcnt_dscnt 0x100
	v_mul_f64_e32 v[0:1], v[162:163], v[166:167]
	s_delay_alu instid0(VALU_DEP_1) | instskip(SKIP_1) | instid1(VALU_DEP_1)
	v_fma_f64 v[16:17], v[160:161], v[164:165], -v[0:1]
	v_mul_f64_e32 v[0:1], v[160:161], v[166:167]
	v_fma_f64 v[18:19], v[162:163], v[164:165], v[0:1]
	ds_load_b128 v[0:3], v200 offset:2560
	ds_load_b128 v[172:175], v200 offset:2816
	s_clause 0x1
	global_load_b128 v[168:171], v202, s[10:11] offset:2704
	global_load_b128 v[160:163], v202, s[10:11] offset:2960
	s_wait_loadcnt_dscnt 0x201
	v_mul_f64_e32 v[12:13], v[2:3], v[158:159]
	s_delay_alu instid0(VALU_DEP_1) | instskip(SKIP_1) | instid1(VALU_DEP_1)
	v_fma_f64 v[20:21], v[0:1], v[156:157], -v[12:13]
	v_mul_f64_e32 v[0:1], v[0:1], v[158:159]
	v_fma_f64 v[22:23], v[2:3], v[156:157], v[0:1]
	s_wait_loadcnt_dscnt 0x100
	v_mul_f64_e32 v[0:1], v[174:175], v[170:171]
	s_delay_alu instid0(VALU_DEP_1) | instskip(SKIP_1) | instid1(VALU_DEP_1)
	v_fma_f64 v[24:25], v[172:173], v[168:169], -v[0:1]
	v_mul_f64_e32 v[0:1], v[172:173], v[170:171]
	v_fma_f64 v[26:27], v[174:175], v[168:169], v[0:1]
	ds_load_b128 v[0:3], v200 offset:3072
	ds_load_b128 v[228:231], v200 offset:3328
	global_load_b128 v[172:175], v202, s[10:11] offset:3216
	s_wait_loadcnt_dscnt 0x101
	v_mul_f64_e32 v[12:13], v[2:3], v[162:163]
	s_delay_alu instid0(VALU_DEP_1) | instskip(SKIP_1) | instid1(VALU_DEP_1)
	v_fma_f64 v[28:29], v[0:1], v[160:161], -v[12:13]
	v_mul_f64_e32 v[0:1], v[0:1], v[162:163]
	v_fma_f64 v[30:31], v[2:3], v[160:161], v[0:1]
	s_wait_loadcnt_dscnt 0x0
	v_mul_f64_e32 v[0:1], v[230:231], v[174:175]
	s_delay_alu instid0(VALU_DEP_1) | instskip(SKIP_1) | instid1(VALU_DEP_1)
	v_fma_f64 v[32:33], v[228:229], v[172:173], -v[0:1]
	v_mul_f64_e32 v[0:1], v[228:229], v[174:175]
	v_fma_f64 v[34:35], v[230:231], v[172:173], v[0:1]
	ds_load_b128 v[0:3], v201
	ds_load_b128 v[228:231], v200 offset:256
	ds_load_b128 v[240:243], v200 offset:512
	;; [unrolled: 1-line block ×3, first 2 shown]
	s_wait_dscnt 0x3
	v_add_f64_e64 v[232:233], v[0:1], -v[4:5]
	v_add_f64_e64 v[234:235], v[2:3], -v[6:7]
	s_wait_dscnt 0x2
	v_add_f64_e64 v[236:237], v[228:229], -v[8:9]
	v_add_f64_e64 v[238:239], v[230:231], -v[10:11]
	;; [unrolled: 3-line block ×4, first 2 shown]
	v_fma_f64 v[12:13], v[0:1], 2.0, -v[232:233]
	v_fma_f64 v[14:15], v[2:3], 2.0, -v[234:235]
	ds_load_b128 v[0:3], v200 offset:1024
	ds_load_b128 v[4:7], v200 offset:1280
	v_fma_f64 v[228:229], v[228:229], 2.0, -v[236:237]
	v_fma_f64 v[230:231], v[230:231], 2.0, -v[238:239]
	;; [unrolled: 1-line block ×6, first 2 shown]
	s_wait_dscnt 0x1
	v_add_f64_e64 v[8:9], v[0:1], -v[24:25]
	v_add_f64_e64 v[10:11], v[2:3], -v[26:27]
	s_delay_alu instid0(VALU_DEP_2) | instskip(NEXT) | instid1(VALU_DEP_2)
	v_fma_f64 v[16:17], v[0:1], 2.0, -v[8:9]
	v_fma_f64 v[18:19], v[2:3], 2.0, -v[10:11]
	s_wait_dscnt 0x0
	v_add_f64_e64 v[0:1], v[4:5], -v[28:29]
	v_add_f64_e64 v[2:3], v[6:7], -v[30:31]
	s_delay_alu instid0(VALU_DEP_2) | instskip(NEXT) | instid1(VALU_DEP_2)
	v_fma_f64 v[20:21], v[4:5], 2.0, -v[0:1]
	v_fma_f64 v[22:23], v[6:7], 2.0, -v[2:3]
	v_add_f64_e64 v[4:5], v[224:225], -v[32:33]
	v_add_f64_e64 v[6:7], v[226:227], -v[34:35]
	s_delay_alu instid0(VALU_DEP_2) | instskip(NEXT) | instid1(VALU_DEP_2)
	v_fma_f64 v[224:225], v[224:225], 2.0, -v[4:5]
	v_fma_f64 v[226:227], v[226:227], 2.0, -v[6:7]
	ds_store_b128 v201, v[12:15]
	ds_store_b128 v200, v[232:235] offset:1792
	ds_store_b128 v200, v[236:239] offset:2048
	;; [unrolled: 1-line block ×13, first 2 shown]
	global_wb scope:SCOPE_SE
	s_wait_dscnt 0x0
	s_barrier_signal -1
	s_barrier_wait -1
	global_inv scope:SCOPE_SE
	s_clause 0x1
	global_load_b128 v[0:3], v202, s[8:9] offset:3584
	global_load_b128 v[36:39], v202, s[6:7] offset:3328
	ds_load_b128 v[4:7], v201
	s_clause 0x5
	global_load_b128 v[20:23], v202, s[6:7] offset:1024
	global_load_b128 v[228:231], v202, s[6:7] offset:768
	;; [unrolled: 1-line block ×6, first 2 shown]
	s_wait_loadcnt_dscnt 0x700
	v_mul_f64_e32 v[8:9], v[6:7], v[2:3]
	v_mul_f64_e32 v[10:11], v[4:5], v[2:3]
	s_delay_alu instid0(VALU_DEP_2) | instskip(NEXT) | instid1(VALU_DEP_2)
	v_fma_f64 v[2:3], v[4:5], v[0:1], -v[8:9]
	v_fma_f64 v[4:5], v[6:7], v[0:1], v[10:11]
	ds_store_b128 v201, v[2:5]
	global_load_b128 v[0:3], v202, s[6:7] offset:512
	ds_load_b128 v[4:7], v200 offset:512
	ds_load_b128 v[28:31], v200 offset:256
	;; [unrolled: 1-line block ×9, first 2 shown]
	s_wait_loadcnt_dscnt 0x201
	v_mul_f64_e32 v[50:51], v[24:25], v[254:255]
	s_wait_loadcnt 0x0
	v_mul_f64_e32 v[8:9], v[6:7], v[2:3]
	v_mul_f64_e32 v[2:3], v[4:5], v[2:3]
	s_delay_alu instid0(VALU_DEP_2) | instskip(NEXT) | instid1(VALU_DEP_2)
	v_fma_f64 v[46:47], v[4:5], v[0:1], -v[8:9]
	v_fma_f64 v[48:49], v[6:7], v[0:1], v[2:3]
	v_mul_f64_e32 v[0:1], v[226:227], v[22:23]
	v_mul_f64_e32 v[2:3], v[224:225], v[22:23]
	s_delay_alu instid0(VALU_DEP_2) | instskip(NEXT) | instid1(VALU_DEP_2)
	v_fma_f64 v[224:225], v[224:225], v[20:21], -v[0:1]
	v_fma_f64 v[226:227], v[226:227], v[20:21], v[2:3]
	global_load_b128 v[20:23], v202, s[6:7] offset:1536
	s_wait_loadcnt 0x0
	v_mul_f64_e32 v[0:1], v[238:239], v[22:23]
	v_mul_f64_e32 v[2:3], v[236:237], v[22:23]
	s_delay_alu instid0(VALU_DEP_2) | instskip(NEXT) | instid1(VALU_DEP_2)
	v_fma_f64 v[236:237], v[236:237], v[20:21], -v[0:1]
	v_fma_f64 v[238:239], v[238:239], v[20:21], v[2:3]
	global_load_b128 v[20:23], v202, s[6:7] offset:2048
	s_wait_loadcnt 0x0
	v_mul_f64_e32 v[0:1], v[250:251], v[22:23]
	v_mul_f64_e32 v[2:3], v[248:249], v[22:23]
	s_delay_alu instid0(VALU_DEP_2) | instskip(NEXT) | instid1(VALU_DEP_2)
	v_fma_f64 v[248:249], v[248:249], v[20:21], -v[0:1]
	v_fma_f64 v[250:251], v[250:251], v[20:21], v[2:3]
	global_load_b128 v[20:23], v202, s[6:7] offset:2560
	ds_load_b128 v[0:3], v200 offset:2560
	s_wait_loadcnt_dscnt 0x0
	v_mul_f64_e32 v[4:5], v[2:3], v[22:23]
	v_mul_f64_e32 v[6:7], v[0:1], v[22:23]
	s_delay_alu instid0(VALU_DEP_2) | instskip(NEXT) | instid1(VALU_DEP_2)
	v_fma_f64 v[42:43], v[0:1], v[20:21], -v[4:5]
	v_fma_f64 v[44:45], v[2:3], v[20:21], v[6:7]
	s_clause 0x1
	global_load_b128 v[20:23], v202, s[6:7] offset:3072
	global_load_b128 v[8:11], v202, s[6:7] offset:2816
	ds_load_b128 v[0:3], v200 offset:3072
	ds_load_b128 v[4:7], v200 offset:2816
	s_wait_loadcnt_dscnt 0x101
	v_mul_f64_e32 v[40:41], v[2:3], v[22:23]
	v_mul_f64_e32 v[22:23], v[0:1], v[22:23]
	s_delay_alu instid0(VALU_DEP_2) | instskip(SKIP_1) | instid1(VALU_DEP_3)
	v_fma_f64 v[0:1], v[0:1], v[20:21], -v[40:41]
	v_mul_f64_e32 v[40:41], v[26:27], v[254:255]
	v_fma_f64 v[2:3], v[2:3], v[20:21], v[22:23]
	v_mul_f64_e32 v[20:21], v[30:31], v[34:35]
	v_mul_f64_e32 v[22:23], v[28:29], v[34:35]
	;; [unrolled: 1-line block ×3, first 2 shown]
	v_fma_f64 v[26:27], v[26:27], v[252:253], v[50:51]
	v_fma_f64 v[24:25], v[24:25], v[252:253], -v[40:41]
	v_mul_f64_e32 v[40:41], v[14:15], v[18:19]
	v_mul_f64_e32 v[18:19], v[12:13], v[18:19]
	v_fma_f64 v[20:21], v[28:29], v[32:33], -v[20:21]
	v_fma_f64 v[22:23], v[30:31], v[32:33], v[22:23]
	v_mul_f64_e32 v[28:29], v[234:235], v[230:231]
	v_mul_f64_e32 v[30:31], v[232:233], v[230:231]
	;; [unrolled: 1-line block ×3, first 2 shown]
	v_fma_f64 v[34:35], v[246:247], v[240:241], v[34:35]
	v_fma_f64 v[12:13], v[12:13], v[16:17], -v[40:41]
	v_fma_f64 v[14:15], v[14:15], v[16:17], v[18:19]
	s_wait_loadcnt_dscnt 0x0
	v_mul_f64_e32 v[16:17], v[6:7], v[10:11]
	v_mul_f64_e32 v[10:11], v[4:5], v[10:11]
	v_fma_f64 v[28:29], v[232:233], v[228:229], -v[28:29]
	v_fma_f64 v[30:31], v[234:235], v[228:229], v[30:31]
	v_fma_f64 v[32:33], v[244:245], v[240:241], -v[32:33]
	v_fma_f64 v[4:5], v[4:5], v[8:9], -v[16:17]
	v_fma_f64 v[6:7], v[6:7], v[8:9], v[10:11]
	ds_load_b128 v[8:11], v200 offset:3328
	s_wait_dscnt 0x0
	v_mul_f64_e32 v[16:17], v[10:11], v[38:39]
	v_mul_f64_e32 v[18:19], v[8:9], v[38:39]
	s_delay_alu instid0(VALU_DEP_2) | instskip(NEXT) | instid1(VALU_DEP_2)
	v_fma_f64 v[8:9], v[8:9], v[36:37], -v[16:17]
	v_fma_f64 v[10:11], v[10:11], v[36:37], v[18:19]
	ds_store_b128 v200, v[46:49] offset:512
	ds_store_b128 v200, v[20:23] offset:256
	;; [unrolled: 1-line block ×13, first 2 shown]
	global_wb scope:SCOPE_SE
	s_wait_dscnt 0x0
	s_barrier_signal -1
	s_barrier_wait -1
	global_inv scope:SCOPE_SE
	ds_load_b128 v[0:3], v200 offset:3072
	ds_load_b128 v[4:7], v200 offset:512
	;; [unrolled: 1-line block ×4, first 2 shown]
	s_wait_dscnt 0x2
	v_add_f64_e32 v[32:33], v[4:5], v[0:1]
	v_add_f64_e32 v[34:35], v[6:7], v[2:3]
	v_add_f64_e64 v[36:37], v[4:5], -v[0:1]
	v_add_f64_e64 v[38:39], v[6:7], -v[2:3]
	ds_load_b128 v[0:3], v200 offset:2560
	ds_load_b128 v[4:7], v200 offset:1024
	;; [unrolled: 1-line block ×4, first 2 shown]
	s_wait_dscnt 0x4
	v_add_f64_e32 v[228:229], v[8:9], v[12:13]
	v_add_f64_e64 v[232:233], v[8:9], -v[12:13]
	v_add_f64_e32 v[230:231], v[10:11], v[14:15]
	v_add_f64_e64 v[234:235], v[10:11], -v[14:15]
	s_wait_dscnt 0x2
	v_add_f64_e32 v[40:41], v[4:5], v[0:1]
	v_add_f64_e32 v[42:43], v[6:7], v[2:3]
	v_add_f64_e64 v[44:45], v[4:5], -v[0:1]
	v_add_f64_e64 v[46:47], v[6:7], -v[2:3]
	ds_load_b128 v[0:3], v200 offset:2048
	ds_load_b128 v[4:7], v200 offset:1536
	;; [unrolled: 1-line block ×4, first 2 shown]
	s_wait_dscnt 0x4
	v_add_f64_e32 v[236:237], v[16:17], v[20:21]
	v_add_f64_e32 v[238:239], v[18:19], v[22:23]
	v_add_f64_e64 v[240:241], v[16:17], -v[20:21]
	v_add_f64_e64 v[242:243], v[18:19], -v[22:23]
	s_wait_dscnt 0x2
	v_add_f64_e32 v[48:49], v[4:5], v[0:1]
	v_add_f64_e64 v[224:225], v[0:1], -v[4:5]
	v_add_f64_e32 v[50:51], v[6:7], v[2:3]
	s_wait_dscnt 0x0
	v_add_f64_e32 v[246:247], v[26:27], v[30:31]
	v_add_f64_e64 v[250:251], v[30:31], -v[26:27]
	v_add_f64_e64 v[226:227], v[2:3], -v[6:7]
	v_add_f64_e32 v[244:245], v[24:25], v[28:29]
	v_add_f64_e64 v[248:249], v[28:29], -v[24:25]
	v_add_f64_e32 v[0:1], v[40:41], v[32:33]
	v_add_f64_e64 v[18:19], v[42:43], -v[34:35]
	v_add_f64_e64 v[20:21], v[44:45], -v[36:37]
	;; [unrolled: 1-line block ×7, first 2 shown]
	v_add_f64_e32 v[12:13], v[224:225], v[44:45]
	v_add_f64_e32 v[22:23], v[226:227], v[46:47]
	v_add_f64_e64 v[28:29], v[226:227], -v[46:47]
	v_add_f64_e32 v[8:9], v[48:49], v[0:1]
	v_add_f64_e32 v[0:1], v[42:43], v[34:35]
	s_wait_alu 0xfffe
	v_mul_f64_e32 v[44:45], s[22:23], v[14:15]
	v_mul_f64_e32 v[14:15], s[12:13], v[26:27]
	v_add_f64_e32 v[40:41], v[12:13], v[36:37]
	v_mul_f64_e32 v[12:13], s[12:13], v[24:25]
	v_add_f64_e32 v[42:43], v[22:23], v[38:39]
	;; [unrolled: 2-line block ×3, first 2 shown]
	ds_load_b128 v[0:3], v201
	ds_load_b128 v[4:7], v200 offset:256
	global_wb scope:SCOPE_SE
	s_wait_dscnt 0x0
	s_barrier_signal -1
	s_barrier_wait -1
	global_inv scope:SCOPE_SE
	v_add_f64_e32 v[0:1], v[0:1], v[8:9]
	v_fma_f64 v[14:15], v[18:19], s[20:21], -v[14:15]
	v_fma_f64 v[12:13], v[16:17], s[20:21], -v[12:13]
	v_add_f64_e32 v[2:3], v[2:3], v[10:11]
	s_delay_alu instid0(VALU_DEP_4) | instskip(SKIP_2) | instid1(VALU_DEP_4)
	v_fma_f64 v[46:47], v[8:9], s[2:3], v[0:1]
	v_fma_f64 v[8:9], v[20:21], s[18:19], -v[44:45]
	v_mul_f64_e32 v[20:21], s[16:17], v[20:21]
	v_fma_f64 v[252:253], v[10:11], s[2:3], v[2:3]
	s_delay_alu instid0(VALU_DEP_4) | instskip(NEXT) | instid1(VALU_DEP_4)
	v_add_f64_e32 v[12:13], v[12:13], v[46:47]
	v_fma_f64 v[22:23], v[40:41], s[14:15], v[8:9]
	v_fma_f64 v[8:9], v[30:31], s[18:19], -v[28:29]
	v_mul_f64_e32 v[30:31], s[16:17], v[30:31]
	v_add_f64_e32 v[14:15], v[14:15], v[252:253]
	s_delay_alu instid0(VALU_DEP_3) | instskip(NEXT) | instid1(VALU_DEP_2)
	v_fma_f64 v[254:255], v[42:43], s[14:15], v[8:9]
	v_add_f64_e32 v[10:11], v[22:23], v[14:15]
	v_add_f64_e64 v[14:15], v[14:15], -v[22:23]
	v_add_f64_e64 v[22:23], v[32:33], -v[48:49]
	;; [unrolled: 1-line block ×6, first 2 shown]
	v_add_f64_e32 v[12:13], v[12:13], v[254:255]
	v_mul_f64_e32 v[38:39], s[26:27], v[22:23]
	v_mul_f64_e32 v[32:33], s[26:27], v[32:33]
	v_fma_f64 v[20:21], v[34:35], s[30:31], v[20:21]
	v_fma_f64 v[22:23], v[36:37], s[30:31], v[30:31]
	;; [unrolled: 1-line block ×3, first 2 shown]
	v_fma_f64 v[16:17], v[16:17], s[28:29], -v[38:39]
	v_fma_f64 v[18:19], v[18:19], s[28:29], -v[32:33]
	v_fma_f64 v[30:31], v[40:41], s[14:15], v[20:21]
	v_fma_f64 v[20:21], v[42:43], s[14:15], v[22:23]
	;; [unrolled: 1-line block ×5, first 2 shown]
	v_add_f64_e64 v[42:43], v[234:235], -v[250:251]
	v_add_f64_e32 v[22:23], v[16:17], v[46:47]
	v_add_f64_e32 v[48:49], v[18:19], v[252:253]
	v_add_f64_e32 v[32:33], v[24:25], v[46:47]
	s_delay_alu instid0(VALU_DEP_3) | instskip(NEXT) | instid1(VALU_DEP_3)
	v_add_f64_e32 v[16:17], v[22:23], v[20:21]
	v_add_f64_e64 v[18:19], v[48:49], -v[30:31]
	v_add_f64_e64 v[20:21], v[22:23], -v[20:21]
	v_add_f64_e32 v[22:23], v[30:31], v[48:49]
	v_fma_f64 v[30:31], v[34:35], s[24:25], v[44:45]
	v_add_f64_e32 v[34:35], v[26:27], v[252:253]
	v_add_f64_e32 v[24:25], v[32:33], v[28:29]
	v_add_f64_e64 v[28:29], v[32:33], -v[28:29]
	s_delay_alu instid0(VALU_DEP_4) | instskip(SKIP_1) | instid1(VALU_DEP_2)
	v_fma_f64 v[30:31], v[40:41], s[14:15], v[30:31]
	v_add_f64_e64 v[40:41], v[232:233], -v[248:249]
	v_add_f64_e64 v[26:27], v[34:35], -v[30:31]
	v_add_f64_e32 v[30:31], v[30:31], v[34:35]
	ds_store_b128 v203, v[0:3]
	ds_store_b128 v203, v[24:27] offset:16
	ds_store_b128 v203, v[16:19] offset:32
	;; [unrolled: 1-line block ×6, first 2 shown]
	v_add_f64_e32 v[0:1], v[236:237], v[228:229]
	v_add_f64_e64 v[20:21], v[244:245], -v[236:237]
	v_add_f64_e64 v[22:23], v[246:247], -v[238:239]
	;; [unrolled: 1-line block ×6, first 2 shown]
	v_add_f64_e32 v[18:19], v[250:251], v[242:243]
	v_add_f64_e64 v[26:27], v[242:243], -v[234:235]
	v_add_f64_e32 v[8:9], v[244:245], v[0:1]
	v_add_f64_e32 v[0:1], v[238:239], v[230:231]
	v_mul_f64_e32 v[24:25], s[22:23], v[24:25]
	v_add_f64_e32 v[30:31], v[18:19], v[234:235]
	s_delay_alu instid0(VALU_DEP_3) | instskip(SKIP_2) | instid1(VALU_DEP_3)
	v_add_f64_e32 v[10:11], v[246:247], v[0:1]
	v_add_f64_e32 v[0:1], v[4:5], v[8:9]
	;; [unrolled: 1-line block ×4, first 2 shown]
	v_add_f64_e64 v[6:7], v[248:249], -v[240:241]
	s_delay_alu instid0(VALU_DEP_3)
	v_add_f64_e32 v[28:29], v[4:5], v[232:233]
	v_mul_f64_e32 v[4:5], s[12:13], v[20:21]
	v_fma_f64 v[34:35], v[8:9], s[2:3], v[0:1]
	v_fma_f64 v[36:37], v[10:11], s[2:3], v[2:3]
	v_mul_f64_e32 v[32:33], s[22:23], v[6:7]
	v_mul_f64_e32 v[6:7], s[12:13], v[22:23]
	v_fma_f64 v[4:5], v[12:13], s[20:21], -v[4:5]
	s_lshl_b64 s[2:3], s[4:5], 9
	s_delay_alu instid0(VALU_DEP_3) | instskip(NEXT) | instid1(VALU_DEP_3)
	v_fma_f64 v[8:9], v[16:17], s[18:19], -v[32:33]
	v_fma_f64 v[6:7], v[14:15], s[20:21], -v[6:7]
	s_delay_alu instid0(VALU_DEP_3) | instskip(SKIP_1) | instid1(VALU_DEP_4)
	v_add_f64_e32 v[18:19], v[4:5], v[34:35]
	v_mul_f64_e32 v[16:17], s[16:17], v[16:17]
	v_fma_f64 v[10:11], v[28:29], s[14:15], v[8:9]
	v_fma_f64 v[8:9], v[26:27], s[18:19], -v[24:25]
	v_add_f64_e32 v[38:39], v[6:7], v[36:37]
	v_mul_f64_e32 v[26:27], s[16:17], v[26:27]
	v_fma_f64 v[16:17], v[40:41], s[30:31], v[16:17]
	v_fma_f64 v[24:25], v[42:43], s[24:25], v[24:25]
	;; [unrolled: 1-line block ×3, first 2 shown]
	v_add_f64_e32 v[6:7], v[10:11], v[38:39]
	v_add_f64_e64 v[10:11], v[38:39], -v[10:11]
	v_add_f64_e64 v[38:39], v[230:231], -v[246:247]
	v_fma_f64 v[24:25], v[30:31], s[14:15], v[24:25]
	v_add_f64_e64 v[4:5], v[18:19], -v[8:9]
	v_add_f64_e32 v[8:9], v[18:19], v[8:9]
	v_add_f64_e64 v[18:19], v[228:229], -v[244:245]
	v_mul_f64_e32 v[38:39], s[26:27], v[38:39]
	s_delay_alu instid0(VALU_DEP_2) | instskip(SKIP_1) | instid1(VALU_DEP_3)
	v_mul_f64_e32 v[44:45], s[26:27], v[18:19]
	v_fma_f64 v[18:19], v[42:43], s[30:31], v[26:27]
	v_fma_f64 v[14:15], v[14:15], s[28:29], -v[38:39]
	v_fma_f64 v[26:27], v[28:29], s[14:15], v[16:17]
	v_fma_f64 v[22:23], v[22:23], s[12:13], v[38:39]
	v_fma_f64 v[12:13], v[12:13], s[28:29], -v[44:45]
	v_fma_f64 v[16:17], v[30:31], s[14:15], v[18:19]
	v_add_f64_e32 v[46:47], v[14:15], v[36:37]
	v_fma_f64 v[20:21], v[20:21], s[12:13], v[44:45]
	v_add_f64_e32 v[30:31], v[22:23], v[36:37]
	v_add_f64_e32 v[18:19], v[12:13], v[34:35]
	s_delay_alu instid0(VALU_DEP_4) | instskip(NEXT) | instid1(VALU_DEP_2)
	v_add_f64_e64 v[14:15], v[46:47], -v[26:27]
	v_add_f64_e32 v[12:13], v[18:19], v[16:17]
	v_add_f64_e64 v[16:17], v[18:19], -v[16:17]
	v_add_f64_e32 v[18:19], v[26:27], v[46:47]
	v_fma_f64 v[26:27], v[40:41], s[24:25], v[32:33]
	s_delay_alu instid0(VALU_DEP_1) | instskip(SKIP_1) | instid1(VALU_DEP_2)
	v_fma_f64 v[26:27], v[28:29], s[14:15], v[26:27]
	v_add_f64_e32 v[28:29], v[20:21], v[34:35]
	v_add_f64_e64 v[22:23], v[30:31], -v[26:27]
	s_delay_alu instid0(VALU_DEP_2)
	v_add_f64_e32 v[20:21], v[28:29], v[24:25]
	v_add_f64_e64 v[24:25], v[28:29], -v[24:25]
	v_add_f64_e32 v[26:27], v[26:27], v[30:31]
	ds_store_b128 v198, v[0:3]
	ds_store_b128 v198, v[20:23] offset:16
	ds_store_b128 v198, v[12:15] offset:32
	;; [unrolled: 1-line block ×6, first 2 shown]
	global_wb scope:SCOPE_SE
	s_wait_dscnt 0x0
	s_barrier_signal -1
	s_barrier_wait -1
	global_inv scope:SCOPE_SE
	ds_load_b128 v[0:3], v200 offset:1792
	ds_load_b128 v[4:7], v200 offset:1536
	s_wait_dscnt 0x1
	v_mul_f64_e32 v[8:9], v[62:63], v[2:3]
	s_delay_alu instid0(VALU_DEP_1) | instskip(SKIP_1) | instid1(VALU_DEP_1)
	v_fma_f64 v[12:13], v[60:61], v[0:1], v[8:9]
	v_mul_f64_e32 v[0:1], v[62:63], v[0:1]
	v_fma_f64 v[14:15], v[60:61], v[2:3], -v[0:1]
	ds_load_b128 v[0:3], v200 offset:2048
	ds_load_b128 v[8:11], v200 offset:2304
	s_wait_dscnt 0x1
	v_mul_f64_e32 v[16:17], v[58:59], v[2:3]
	s_delay_alu instid0(VALU_DEP_1) | instskip(SKIP_1) | instid1(VALU_DEP_1)
	v_fma_f64 v[32:33], v[56:57], v[0:1], v[16:17]
	v_mul_f64_e32 v[0:1], v[58:59], v[0:1]
	v_fma_f64 v[34:35], v[56:57], v[2:3], -v[0:1]
	s_wait_dscnt 0x0
	v_mul_f64_e32 v[0:1], v[78:79], v[10:11]
	s_delay_alu instid0(VALU_DEP_1) | instskip(SKIP_1) | instid1(VALU_DEP_1)
	v_fma_f64 v[36:37], v[76:77], v[8:9], v[0:1]
	v_mul_f64_e32 v[0:1], v[78:79], v[8:9]
	v_fma_f64 v[38:39], v[76:77], v[10:11], -v[0:1]
	ds_load_b128 v[0:3], v200 offset:2560
	ds_load_b128 v[8:11], v200 offset:2816
	s_wait_dscnt 0x1
	v_mul_f64_e32 v[16:17], v[74:75], v[2:3]
	s_delay_alu instid0(VALU_DEP_1) | instskip(SKIP_1) | instid1(VALU_DEP_1)
	v_fma_f64 v[40:41], v[72:73], v[0:1], v[16:17]
	v_mul_f64_e32 v[0:1], v[74:75], v[0:1]
	v_fma_f64 v[42:43], v[72:73], v[2:3], -v[0:1]
	;; [unrolled: 14-line block ×3, first 2 shown]
	s_wait_dscnt 0x0
	v_mul_f64_e32 v[0:1], v[90:91], v[10:11]
	s_delay_alu instid0(VALU_DEP_1) | instskip(SKIP_1) | instid1(VALU_DEP_1)
	v_fma_f64 v[56:57], v[88:89], v[8:9], v[0:1]
	v_mul_f64_e32 v[0:1], v[90:91], v[8:9]
	v_fma_f64 v[58:59], v[88:89], v[10:11], -v[0:1]
	ds_load_b128 v[0:3], v201
	ds_load_b128 v[8:11], v200 offset:256
	ds_load_b128 v[16:19], v200 offset:512
	;; [unrolled: 1-line block ×5, first 2 shown]
	global_wb scope:SCOPE_SE
	s_wait_dscnt 0x0
	s_barrier_signal -1
	s_barrier_wait -1
	global_inv scope:SCOPE_SE
	scratch_load_b32 v60, off, off offset:168 th:TH_LOAD_LU ; 4-byte Folded Reload
	v_add_f64_e64 v[12:13], v[0:1], -v[12:13]
	v_add_f64_e64 v[14:15], v[2:3], -v[14:15]
	s_delay_alu instid0(VALU_DEP_2) | instskip(NEXT) | instid1(VALU_DEP_2)
	v_fma_f64 v[0:1], v[0:1], 2.0, -v[12:13]
	v_fma_f64 v[2:3], v[2:3], 2.0, -v[14:15]
	s_wait_loadcnt 0x0
	ds_store_b128 v60, v[12:15] offset:112
	ds_store_b128 v60, v[0:3]
	scratch_load_b32 v12, off, off offset:164 th:TH_LOAD_LU ; 4-byte Folded Reload
	v_add_f64_e64 v[0:1], v[8:9], -v[32:33]
	v_add_f64_e64 v[2:3], v[10:11], -v[34:35]
	s_delay_alu instid0(VALU_DEP_2) | instskip(NEXT) | instid1(VALU_DEP_2)
	v_fma_f64 v[8:9], v[8:9], 2.0, -v[0:1]
	v_fma_f64 v[10:11], v[10:11], 2.0, -v[2:3]
	s_wait_loadcnt 0x0
	ds_store_b128 v12, v[8:11]
	ds_store_b128 v12, v[0:3] offset:112
	scratch_load_b32 v12, off, off offset:160 th:TH_LOAD_LU ; 4-byte Folded Reload
	v_add_f64_e64 v[0:1], v[16:17], -v[36:37]
	v_add_f64_e64 v[2:3], v[18:19], -v[38:39]
	s_delay_alu instid0(VALU_DEP_2) | instskip(NEXT) | instid1(VALU_DEP_2)
	v_fma_f64 v[8:9], v[16:17], 2.0, -v[0:1]
	v_fma_f64 v[10:11], v[18:19], 2.0, -v[2:3]
	s_wait_loadcnt 0x0
	ds_store_b128 v12, v[8:11]
	ds_store_b128 v12, v[0:3] offset:112
	;; [unrolled: 9-line block ×6, first 2 shown]
	global_wb scope:SCOPE_SE
	s_wait_dscnt 0x0
	s_barrier_signal -1
	s_barrier_wait -1
	global_inv scope:SCOPE_SE
	ds_load_b128 v[0:3], v200 offset:1792
	ds_load_b128 v[4:7], v200 offset:1536
	s_wait_dscnt 0x1
	v_mul_f64_e32 v[8:9], v[70:71], v[2:3]
	s_delay_alu instid0(VALU_DEP_1) | instskip(SKIP_1) | instid1(VALU_DEP_1)
	v_fma_f64 v[12:13], v[68:69], v[0:1], v[8:9]
	v_mul_f64_e32 v[0:1], v[70:71], v[0:1]
	v_fma_f64 v[14:15], v[68:69], v[2:3], -v[0:1]
	ds_load_b128 v[0:3], v200 offset:2048
	ds_load_b128 v[8:11], v200 offset:2304
	s_wait_dscnt 0x1
	v_mul_f64_e32 v[16:17], v[66:67], v[2:3]
	s_delay_alu instid0(VALU_DEP_1) | instskip(SKIP_1) | instid1(VALU_DEP_1)
	v_fma_f64 v[32:33], v[64:65], v[0:1], v[16:17]
	v_mul_f64_e32 v[0:1], v[66:67], v[0:1]
	v_fma_f64 v[34:35], v[64:65], v[2:3], -v[0:1]
	s_wait_dscnt 0x0
	v_mul_f64_e32 v[0:1], v[142:143], v[10:11]
	s_delay_alu instid0(VALU_DEP_1) | instskip(SKIP_1) | instid1(VALU_DEP_1)
	v_fma_f64 v[36:37], v[140:141], v[8:9], v[0:1]
	v_mul_f64_e32 v[0:1], v[142:143], v[8:9]
	v_fma_f64 v[38:39], v[140:141], v[10:11], -v[0:1]
	ds_load_b128 v[0:3], v200 offset:2560
	ds_load_b128 v[8:11], v200 offset:2816
	s_wait_dscnt 0x1
	v_mul_f64_e32 v[16:17], v[138:139], v[2:3]
	s_delay_alu instid0(VALU_DEP_1) | instskip(SKIP_1) | instid1(VALU_DEP_1)
	v_fma_f64 v[40:41], v[136:137], v[0:1], v[16:17]
	v_mul_f64_e32 v[0:1], v[138:139], v[0:1]
	v_fma_f64 v[42:43], v[136:137], v[2:3], -v[0:1]
	;; [unrolled: 14-line block ×3, first 2 shown]
	s_wait_dscnt 0x0
	v_mul_f64_e32 v[0:1], v[154:155], v[10:11]
	s_delay_alu instid0(VALU_DEP_1) | instskip(SKIP_1) | instid1(VALU_DEP_1)
	v_fma_f64 v[56:57], v[152:153], v[8:9], v[0:1]
	v_mul_f64_e32 v[0:1], v[154:155], v[8:9]
	v_fma_f64 v[58:59], v[152:153], v[10:11], -v[0:1]
	ds_load_b128 v[0:3], v201
	ds_load_b128 v[8:11], v200 offset:256
	ds_load_b128 v[16:19], v200 offset:512
	;; [unrolled: 1-line block ×5, first 2 shown]
	global_wb scope:SCOPE_SE
	s_wait_dscnt 0x0
	s_barrier_signal -1
	s_barrier_wait -1
	global_inv scope:SCOPE_SE
	scratch_load_b32 v60, off, off offset:196 th:TH_LOAD_LU ; 4-byte Folded Reload
	v_add_f64_e64 v[12:13], v[0:1], -v[12:13]
	v_add_f64_e64 v[14:15], v[2:3], -v[14:15]
	s_delay_alu instid0(VALU_DEP_2) | instskip(NEXT) | instid1(VALU_DEP_2)
	v_fma_f64 v[0:1], v[0:1], 2.0, -v[12:13]
	v_fma_f64 v[2:3], v[2:3], 2.0, -v[14:15]
	s_wait_loadcnt 0x0
	ds_store_b128 v60, v[12:15] offset:224
	ds_store_b128 v60, v[0:3]
	scratch_load_b32 v12, off, off offset:192 th:TH_LOAD_LU ; 4-byte Folded Reload
	v_add_f64_e64 v[0:1], v[8:9], -v[32:33]
	v_add_f64_e64 v[2:3], v[10:11], -v[34:35]
	s_delay_alu instid0(VALU_DEP_2) | instskip(NEXT) | instid1(VALU_DEP_2)
	v_fma_f64 v[8:9], v[8:9], 2.0, -v[0:1]
	v_fma_f64 v[10:11], v[10:11], 2.0, -v[2:3]
	s_wait_loadcnt 0x0
	ds_store_b128 v12, v[8:11]
	ds_store_b128 v12, v[0:3] offset:224
	scratch_load_b32 v12, off, off offset:188 th:TH_LOAD_LU ; 4-byte Folded Reload
	v_add_f64_e64 v[0:1], v[16:17], -v[36:37]
	v_add_f64_e64 v[2:3], v[18:19], -v[38:39]
	s_delay_alu instid0(VALU_DEP_2) | instskip(NEXT) | instid1(VALU_DEP_2)
	v_fma_f64 v[8:9], v[16:17], 2.0, -v[0:1]
	v_fma_f64 v[10:11], v[18:19], 2.0, -v[2:3]
	s_wait_loadcnt 0x0
	ds_store_b128 v12, v[8:11]
	ds_store_b128 v12, v[0:3] offset:224
	;; [unrolled: 9-line block ×6, first 2 shown]
	global_wb scope:SCOPE_SE
	s_wait_dscnt 0x0
	s_barrier_signal -1
	s_barrier_wait -1
	global_inv scope:SCOPE_SE
	ds_load_b128 v[0:3], v200 offset:1792
	ds_load_b128 v[4:7], v200 offset:1536
	s_wait_dscnt 0x1
	v_mul_f64_e32 v[8:9], v[94:95], v[2:3]
	s_delay_alu instid0(VALU_DEP_1) | instskip(SKIP_1) | instid1(VALU_DEP_1)
	v_fma_f64 v[12:13], v[92:93], v[0:1], v[8:9]
	v_mul_f64_e32 v[0:1], v[94:95], v[0:1]
	v_fma_f64 v[14:15], v[92:93], v[2:3], -v[0:1]
	ds_load_b128 v[0:3], v200 offset:2048
	ds_load_b128 v[8:11], v200 offset:2304
	s_wait_dscnt 0x1
	v_mul_f64_e32 v[16:17], v[118:119], v[2:3]
	s_delay_alu instid0(VALU_DEP_1) | instskip(SKIP_1) | instid1(VALU_DEP_1)
	v_fma_f64 v[16:17], v[116:117], v[0:1], v[16:17]
	v_mul_f64_e32 v[0:1], v[118:119], v[0:1]
	v_fma_f64 v[18:19], v[116:117], v[2:3], -v[0:1]
	s_wait_dscnt 0x0
	v_mul_f64_e32 v[0:1], v[98:99], v[10:11]
	s_delay_alu instid0(VALU_DEP_1) | instskip(SKIP_1) | instid1(VALU_DEP_1)
	v_fma_f64 v[36:37], v[96:97], v[8:9], v[0:1]
	v_mul_f64_e32 v[0:1], v[98:99], v[8:9]
	v_fma_f64 v[38:39], v[96:97], v[10:11], -v[0:1]
	ds_load_b128 v[0:3], v200 offset:2560
	ds_load_b128 v[8:11], v200 offset:2816
	s_wait_dscnt 0x1
	v_mul_f64_e32 v[20:21], v[114:115], v[2:3]
	s_delay_alu instid0(VALU_DEP_1) | instskip(SKIP_1) | instid1(VALU_DEP_1)
	v_fma_f64 v[40:41], v[112:113], v[0:1], v[20:21]
	v_mul_f64_e32 v[0:1], v[114:115], v[0:1]
	v_fma_f64 v[42:43], v[112:113], v[2:3], -v[0:1]
	;; [unrolled: 14-line block ×3, first 2 shown]
	s_wait_dscnt 0x0
	v_mul_f64_e32 v[0:1], v[130:131], v[10:11]
	s_delay_alu instid0(VALU_DEP_1) | instskip(SKIP_1) | instid1(VALU_DEP_1)
	v_fma_f64 v[56:57], v[128:129], v[8:9], v[0:1]
	v_mul_f64_e32 v[0:1], v[130:131], v[8:9]
	v_fma_f64 v[58:59], v[128:129], v[10:11], -v[0:1]
	ds_load_b128 v[0:3], v201
	ds_load_b128 v[8:11], v200 offset:256
	ds_load_b128 v[20:23], v200 offset:512
	;; [unrolled: 1-line block ×5, first 2 shown]
	global_wb scope:SCOPE_SE
	s_wait_dscnt 0x0
	s_barrier_signal -1
	s_barrier_wait -1
	global_inv scope:SCOPE_SE
	v_add_f64_e64 v[12:13], v[0:1], -v[12:13]
	v_add_f64_e64 v[14:15], v[2:3], -v[14:15]
	;; [unrolled: 1-line block ×4, first 2 shown]
	s_delay_alu instid0(VALU_DEP_4) | instskip(NEXT) | instid1(VALU_DEP_4)
	v_fma_f64 v[0:1], v[0:1], 2.0, -v[12:13]
	v_fma_f64 v[2:3], v[2:3], 2.0, -v[14:15]
	ds_store_b128 v201, v[12:15] offset:448
	ds_store_b128 v201, v[0:3]
	scratch_load_b32 v0, off, off offset:212 th:TH_LOAD_LU ; 4-byte Folded Reload
	v_fma_f64 v[8:9], v[8:9], 2.0, -v[16:17]
	v_fma_f64 v[10:11], v[10:11], 2.0, -v[18:19]
	s_wait_loadcnt 0x0
	ds_store_b128 v0, v[8:11]
	ds_store_b128 v0, v[16:19] offset:448
	v_add_f64_e64 v[0:1], v[20:21], -v[36:37]
	v_add_f64_e64 v[2:3], v[22:23], -v[38:39]
	;; [unrolled: 1-line block ×4, first 2 shown]
	s_delay_alu instid0(VALU_DEP_4) | instskip(NEXT) | instid1(VALU_DEP_4)
	v_fma_f64 v[8:9], v[20:21], 2.0, -v[0:1]
	v_fma_f64 v[10:11], v[22:23], 2.0, -v[2:3]
	ds_store_b128 v201, v[8:11] offset:960
	ds_store_b128 v201, v[0:3] offset:1408
	scratch_load_b32 v0, off, off offset:208 th:TH_LOAD_LU ; 4-byte Folded Reload
	v_fma_f64 v[16:17], v[24:25], 2.0, -v[12:13]
	v_fma_f64 v[18:19], v[26:27], 2.0, -v[14:15]
	s_wait_loadcnt 0x0
	ds_store_b128 v0, v[16:19]
	ds_store_b128 v0, v[12:15] offset:448
	scratch_load_b32 v12, off, off offset:204 th:TH_LOAD_LU ; 4-byte Folded Reload
	v_add_f64_e64 v[0:1], v[28:29], -v[44:45]
	v_add_f64_e64 v[2:3], v[30:31], -v[46:47]
	s_delay_alu instid0(VALU_DEP_2) | instskip(NEXT) | instid1(VALU_DEP_2)
	v_fma_f64 v[8:9], v[28:29], 2.0, -v[0:1]
	v_fma_f64 v[10:11], v[30:31], 2.0, -v[2:3]
	s_wait_loadcnt 0x0
	ds_store_b128 v12, v[8:11] offset:1792
	ds_store_b128 v12, v[0:3] offset:2240
	v_add_f64_e64 v[0:1], v[32:33], -v[48:49]
	v_add_f64_e64 v[2:3], v[34:35], -v[50:51]
	s_delay_alu instid0(VALU_DEP_2) | instskip(NEXT) | instid1(VALU_DEP_2)
	v_fma_f64 v[8:9], v[32:33], 2.0, -v[0:1]
	v_fma_f64 v[10:11], v[34:35], 2.0, -v[2:3]
	ds_store_b128 v196, v[8:11]
	ds_store_b128 v196, v[0:3] offset:448
	scratch_load_b32 v8, off, off offset:200 th:TH_LOAD_LU ; 4-byte Folded Reload
	v_add_f64_e64 v[0:1], v[4:5], -v[56:57]
	v_add_f64_e64 v[2:3], v[6:7], -v[58:59]
	s_delay_alu instid0(VALU_DEP_2) | instskip(NEXT) | instid1(VALU_DEP_2)
	v_fma_f64 v[4:5], v[4:5], 2.0, -v[0:1]
	v_fma_f64 v[6:7], v[6:7], 2.0, -v[2:3]
	s_wait_loadcnt 0x0
	ds_store_b128 v8, v[4:7] offset:2688
	ds_store_b128 v8, v[0:3] offset:3136
	global_wb scope:SCOPE_SE
	s_wait_dscnt 0x0
	s_barrier_signal -1
	s_barrier_wait -1
	global_inv scope:SCOPE_SE
	ds_load_b128 v[0:3], v200 offset:1792
	ds_load_b128 v[4:7], v200 offset:1536
	s_wait_dscnt 0x1
	v_mul_f64_e32 v[8:9], v[106:107], v[2:3]
	s_delay_alu instid0(VALU_DEP_1) | instskip(SKIP_1) | instid1(VALU_DEP_1)
	v_fma_f64 v[12:13], v[104:105], v[0:1], v[8:9]
	v_mul_f64_e32 v[0:1], v[106:107], v[0:1]
	v_fma_f64 v[14:15], v[104:105], v[2:3], -v[0:1]
	ds_load_b128 v[0:3], v200 offset:2048
	ds_load_b128 v[8:11], v200 offset:2304
	s_wait_dscnt 0x1
	v_mul_f64_e32 v[16:17], v[186:187], v[2:3]
	s_delay_alu instid0(VALU_DEP_1) | instskip(SKIP_1) | instid1(VALU_DEP_1)
	v_fma_f64 v[16:17], v[184:185], v[0:1], v[16:17]
	v_mul_f64_e32 v[0:1], v[186:187], v[0:1]
	v_fma_f64 v[18:19], v[184:185], v[2:3], -v[0:1]
	s_wait_dscnt 0x0
	v_mul_f64_e32 v[0:1], v[190:191], v[10:11]
	s_delay_alu instid0(VALU_DEP_1) | instskip(SKIP_1) | instid1(VALU_DEP_1)
	v_fma_f64 v[28:29], v[188:189], v[8:9], v[0:1]
	v_mul_f64_e32 v[0:1], v[190:191], v[8:9]
	v_fma_f64 v[30:31], v[188:189], v[10:11], -v[0:1]
	ds_load_b128 v[0:3], v200 offset:2560
	ds_load_b128 v[8:11], v200 offset:2816
	s_wait_dscnt 0x1
	v_mul_f64_e32 v[20:21], v[194:195], v[2:3]
	s_delay_alu instid0(VALU_DEP_1) | instskip(SKIP_1) | instid1(VALU_DEP_1)
	v_fma_f64 v[32:33], v[192:193], v[0:1], v[20:21]
	v_mul_f64_e32 v[0:1], v[194:195], v[0:1]
	v_fma_f64 v[34:35], v[192:193], v[2:3], -v[0:1]
	;; [unrolled: 14-line block ×3, first 2 shown]
	s_wait_dscnt 0x0
	v_mul_f64_e32 v[0:1], v[182:183], v[10:11]
	s_delay_alu instid0(VALU_DEP_1) | instskip(SKIP_1) | instid1(VALU_DEP_1)
	v_fma_f64 v[56:57], v[180:181], v[8:9], v[0:1]
	v_mul_f64_e32 v[0:1], v[182:183], v[8:9]
	v_fma_f64 v[58:59], v[180:181], v[10:11], -v[0:1]
	ds_load_b128 v[0:3], v201
	ds_load_b128 v[8:11], v200 offset:256
	ds_load_b128 v[20:23], v200 offset:512
	;; [unrolled: 1-line block ×5, first 2 shown]
	global_wb scope:SCOPE_SE
	s_wait_dscnt 0x0
	s_barrier_signal -1
	s_barrier_wait -1
	global_inv scope:SCOPE_SE
	v_add_f64_e64 v[12:13], v[0:1], -v[12:13]
	v_add_f64_e64 v[14:15], v[2:3], -v[14:15]
	;; [unrolled: 1-line block ×8, first 2 shown]
	v_fma_f64 v[0:1], v[0:1], 2.0, -v[12:13]
	v_fma_f64 v[2:3], v[2:3], 2.0, -v[14:15]
	;; [unrolled: 1-line block ×8, first 2 shown]
	ds_store_b128 v201, v[12:15] offset:896
	ds_store_b128 v201, v[0:3]
	ds_store_b128 v200, v[8:11] offset:256
	ds_store_b128 v201, v[16:19] offset:1152
	;; [unrolled: 1-line block ×4, first 2 shown]
	ds_store_b128 v197, v[24:27]
	ds_store_b128 v197, v[32:35] offset:896
	v_add_f64_e64 v[0:1], v[36:37], -v[44:45]
	v_add_f64_e64 v[2:3], v[38:39], -v[46:47]
	;; [unrolled: 1-line block ×6, first 2 shown]
	v_fma_f64 v[8:9], v[36:37], 2.0, -v[0:1]
	v_fma_f64 v[10:11], v[38:39], 2.0, -v[2:3]
	;; [unrolled: 1-line block ×6, first 2 shown]
	ds_store_b128 v201, v[8:11] offset:1920
	ds_store_b128 v201, v[16:19] offset:2176
	;; [unrolled: 1-line block ×6, first 2 shown]
	global_wb scope:SCOPE_SE
	s_wait_dscnt 0x0
	s_barrier_signal -1
	s_barrier_wait -1
	global_inv scope:SCOPE_SE
	ds_load_b128 v[0:3], v200 offset:1792
	ds_load_b128 v[4:7], v200 offset:1536
	s_wait_dscnt 0x1
	v_mul_f64_e32 v[8:9], v[102:103], v[2:3]
	s_delay_alu instid0(VALU_DEP_1) | instskip(SKIP_1) | instid1(VALU_DEP_1)
	v_fma_f64 v[12:13], v[100:101], v[0:1], v[8:9]
	v_mul_f64_e32 v[0:1], v[102:103], v[0:1]
	v_fma_f64 v[14:15], v[100:101], v[2:3], -v[0:1]
	ds_load_b128 v[0:3], v200 offset:2048
	ds_load_b128 v[8:11], v200 offset:2304
	s_wait_dscnt 0x1
	v_mul_f64_e32 v[16:17], v[110:111], v[2:3]
	s_delay_alu instid0(VALU_DEP_1) | instskip(SKIP_1) | instid1(VALU_DEP_1)
	v_fma_f64 v[16:17], v[108:109], v[0:1], v[16:17]
	v_mul_f64_e32 v[0:1], v[110:111], v[0:1]
	v_fma_f64 v[18:19], v[108:109], v[2:3], -v[0:1]
	s_wait_dscnt 0x0
	v_mul_f64_e32 v[0:1], v[166:167], v[10:11]
	s_delay_alu instid0(VALU_DEP_1) | instskip(SKIP_1) | instid1(VALU_DEP_1)
	v_fma_f64 v[28:29], v[164:165], v[8:9], v[0:1]
	v_mul_f64_e32 v[0:1], v[166:167], v[8:9]
	v_fma_f64 v[30:31], v[164:165], v[10:11], -v[0:1]
	ds_load_b128 v[0:3], v200 offset:2560
	ds_load_b128 v[8:11], v200 offset:2816
	s_wait_dscnt 0x1
	v_mul_f64_e32 v[20:21], v[158:159], v[2:3]
	s_delay_alu instid0(VALU_DEP_1) | instskip(SKIP_1) | instid1(VALU_DEP_1)
	v_fma_f64 v[32:33], v[156:157], v[0:1], v[20:21]
	v_mul_f64_e32 v[0:1], v[158:159], v[0:1]
	v_fma_f64 v[34:35], v[156:157], v[2:3], -v[0:1]
	;; [unrolled: 14-line block ×3, first 2 shown]
	s_wait_dscnt 0x0
	v_mul_f64_e32 v[0:1], v[174:175], v[10:11]
	s_delay_alu instid0(VALU_DEP_1) | instskip(SKIP_1) | instid1(VALU_DEP_2)
	v_fma_f64 v[60:61], v[172:173], v[8:9], v[0:1]
	v_mul_f64_e32 v[0:1], v[174:175], v[8:9]
	v_add_f64_e64 v[60:61], v[4:5], -v[60:61]
	s_delay_alu instid0(VALU_DEP_2)
	v_fma_f64 v[62:63], v[172:173], v[10:11], -v[0:1]
	ds_load_b128 v[0:3], v201
	ds_load_b128 v[8:11], v200 offset:256
	ds_load_b128 v[20:23], v200 offset:512
	;; [unrolled: 1-line block ×5, first 2 shown]
	s_wait_dscnt 0x5
	v_add_f64_e64 v[12:13], v[0:1], -v[12:13]
	v_add_f64_e64 v[14:15], v[2:3], -v[14:15]
	s_wait_dscnt 0x4
	v_add_f64_e64 v[16:17], v[8:9], -v[16:17]
	v_add_f64_e64 v[18:19], v[10:11], -v[18:19]
	;; [unrolled: 3-line block ×6, first 2 shown]
	v_fma_f64 v[4:5], v[4:5], 2.0, -v[60:61]
	v_add_f64_e64 v[62:63], v[6:7], -v[62:63]
	v_fma_f64 v[0:1], v[0:1], 2.0, -v[12:13]
	v_fma_f64 v[2:3], v[2:3], 2.0, -v[14:15]
	;; [unrolled: 1-line block ×13, first 2 shown]
	ds_store_b128 v201, v[0:3]
	ds_store_b128 v200, v[12:15] offset:1792
	ds_store_b128 v200, v[16:19] offset:2048
	;; [unrolled: 1-line block ×13, first 2 shown]
	global_wb scope:SCOPE_SE
	s_wait_dscnt 0x0
	s_barrier_signal -1
	s_barrier_wait -1
	global_inv scope:SCOPE_SE
	ds_load_b128 v[0:3], v201
	ds_load_b128 v[4:7], v200 offset:256
	scratch_load_b128 v[10:13], off, off offset:16 th:TH_LOAD_LU ; 16-byte Folded Reload
	s_wait_loadcnt_dscnt 0x1
	v_mul_f64_e32 v[8:9], v[12:13], v[2:3]
	s_delay_alu instid0(VALU_DEP_1) | instskip(SKIP_1) | instid1(VALU_DEP_1)
	v_fma_f64 v[32:33], v[10:11], v[0:1], v[8:9]
	v_mul_f64_e32 v[0:1], v[12:13], v[0:1]
	v_fma_f64 v[34:35], v[10:11], v[2:3], -v[0:1]
	ds_load_b128 v[0:3], v200 offset:512
	ds_load_b128 v[8:11], v200 offset:768
	scratch_load_b128 v[14:17], off, off th:TH_LOAD_LU ; 16-byte Folded Reload
	s_wait_loadcnt_dscnt 0x1
	v_mul_f64_e32 v[12:13], v[16:17], v[2:3]
	s_delay_alu instid0(VALU_DEP_1) | instskip(SKIP_1) | instid1(VALU_DEP_1)
	v_fma_f64 v[36:37], v[14:15], v[0:1], v[12:13]
	v_mul_f64_e32 v[0:1], v[16:17], v[0:1]
	v_fma_f64 v[38:39], v[14:15], v[2:3], -v[0:1]
	ds_load_b128 v[0:3], v200 offset:1024
	ds_load_b128 v[12:15], v200 offset:1280
	s_wait_dscnt 0x1
	v_mul_f64_e32 v[16:17], v[222:223], v[2:3]
	s_delay_alu instid0(VALU_DEP_1) | instskip(SKIP_1) | instid1(VALU_DEP_1)
	v_fma_f64 v[40:41], v[220:221], v[0:1], v[16:17]
	v_mul_f64_e32 v[0:1], v[222:223], v[0:1]
	v_fma_f64 v[42:43], v[220:221], v[2:3], -v[0:1]
	ds_load_b128 v[0:3], v200 offset:1536
	ds_load_b128 v[16:19], v200 offset:1792
	s_wait_dscnt 0x1
	;; [unrolled: 8-line block ×4, first 2 shown]
	v_mul_f64_e32 v[28:29], v[206:207], v[2:3]
	s_delay_alu instid0(VALU_DEP_1) | instskip(SKIP_1) | instid1(VALU_DEP_1)
	v_fma_f64 v[56:57], v[204:205], v[0:1], v[28:29]
	v_mul_f64_e32 v[0:1], v[206:207], v[0:1]
	v_fma_f64 v[58:59], v[204:205], v[2:3], -v[0:1]
	ds_load_b128 v[0:3], v200 offset:3072
	ds_load_b128 v[28:31], v200 offset:3328
	scratch_load_b128 v[62:65], off, off offset:32 th:TH_LOAD_LU ; 16-byte Folded Reload
	s_wait_dscnt 0x1
	v_mul_f64_e32 v[60:61], v[54:55], v[2:3]
	s_delay_alu instid0(VALU_DEP_1) | instskip(SKIP_1) | instid1(VALU_DEP_1)
	v_fma_f64 v[60:61], v[52:53], v[0:1], v[60:61]
	v_mul_f64_e32 v[0:1], v[54:55], v[0:1]
	v_fma_f64 v[52:53], v[52:53], v[2:3], -v[0:1]
	s_wait_loadcnt 0x0
	v_mul_f64_e32 v[0:1], v[64:65], v[6:7]
	s_delay_alu instid0(VALU_DEP_1)
	v_fma_f64 v[54:55], v[62:63], v[4:5], v[0:1]
	v_mul_f64_e32 v[0:1], v[64:65], v[4:5]
	scratch_load_b128 v[2:5], off, off offset:48 th:TH_LOAD_LU ; 16-byte Folded Reload
	v_fma_f64 v[62:63], v[62:63], v[6:7], -v[0:1]
	s_wait_loadcnt 0x0
	v_mul_f64_e32 v[0:1], v[4:5], v[10:11]
	s_delay_alu instid0(VALU_DEP_1) | instskip(SKIP_1) | instid1(VALU_DEP_1)
	v_fma_f64 v[64:65], v[2:3], v[8:9], v[0:1]
	v_mul_f64_e32 v[0:1], v[4:5], v[8:9]
	v_fma_f64 v[66:67], v[2:3], v[10:11], -v[0:1]
	scratch_load_b128 v[2:5], off, off offset:64 th:TH_LOAD_LU ; 16-byte Folded Reload
	s_wait_loadcnt 0x0
	v_mul_f64_e32 v[0:1], v[4:5], v[14:15]
	s_delay_alu instid0(VALU_DEP_1) | instskip(SKIP_1) | instid1(VALU_DEP_1)
	v_fma_f64 v[68:69], v[2:3], v[12:13], v[0:1]
	v_mul_f64_e32 v[0:1], v[4:5], v[12:13]
	v_fma_f64 v[70:71], v[2:3], v[14:15], -v[0:1]
	scratch_load_b128 v[2:5], off, off offset:80 th:TH_LOAD_LU ; 16-byte Folded Reload
	;; [unrolled: 7-line block ×4, first 2 shown]
	s_wait_loadcnt 0x0
	v_mul_f64_e32 v[0:1], v[4:5], v[26:27]
	s_delay_alu instid0(VALU_DEP_1) | instskip(SKIP_1) | instid1(VALU_DEP_1)
	v_fma_f64 v[80:81], v[2:3], v[24:25], v[0:1]
	v_mul_f64_e32 v[0:1], v[4:5], v[24:25]
	v_fma_f64 v[82:83], v[2:3], v[26:27], -v[0:1]
	s_wait_dscnt 0x0
	v_mul_f64_e32 v[0:1], v[218:219], v[30:31]
	s_delay_alu instid0(VALU_DEP_1) | instskip(SKIP_1) | instid1(VALU_DEP_1)
	v_fma_f64 v[84:85], v[216:217], v[28:29], v[0:1]
	v_mul_f64_e32 v[0:1], v[218:219], v[28:29]
	v_fma_f64 v[86:87], v[216:217], v[30:31], -v[0:1]
	s_clause 0x1
	scratch_load_b64 v[3:4], off, off offset:136 th:TH_LOAD_LU
	scratch_load_b64 v[0:1], off, off offset:128 th:TH_LOAD_LU
	s_wait_loadcnt 0x0
	v_mov_b32_e32 v4, v0
	v_mad_co_u64_u32 v[0:1], null, s4, v199, 0
	s_delay_alu instid0(VALU_DEP_1) | instskip(NEXT) | instid1(VALU_DEP_3)
	v_mad_co_u64_u32 v[1:2], null, s5, v199, v[1:2]
	v_lshlrev_b64_e32 v[2:3], 4, v[3:4]
	s_mulk_i32 s5, 0xf500
	s_wait_alu 0xfffe
	s_sub_co_i32 s5, s5, s4
	s_delay_alu instid0(VALU_DEP_2) | instskip(NEXT) | instid1(VALU_DEP_2)
	v_lshlrev_b64_e32 v[0:1], 4, v[0:1]
	v_add_co_u32 v2, vcc_lo, s0, v2
	s_wait_alu 0xfffd
	v_add_co_ci_u32_e32 v3, vcc_lo, s1, v3, vcc_lo
	s_mov_b32 s0, 0x92492492
	s_delay_alu instid0(VALU_DEP_2)
	v_add_co_u32 v4, vcc_lo, v2, v0
	s_mov_b32 s1, 0x3f724924
	s_wait_alu 0xfffd
	v_add_co_ci_u32_e32 v5, vcc_lo, v3, v1, vcc_lo
	s_wait_alu 0xfffe
	v_mul_f64_e32 v[0:1], s[0:1], v[32:33]
	v_mul_f64_e32 v[2:3], s[0:1], v[34:35]
	;; [unrolled: 1-line block ×16, first 2 shown]
	global_store_b128 v[4:5], v[0:3], off
	v_mul_f64_e32 v[0:1], s[0:1], v[36:37]
	v_mul_f64_e32 v[2:3], s[0:1], v[38:39]
	v_add_co_u32 v4, vcc_lo, v4, s2
	s_wait_alu 0xfffd
	v_add_co_ci_u32_e32 v5, vcc_lo, s3, v5, vcc_lo
	global_store_b128 v[4:5], v[0:3], off
	v_mul_f64_e32 v[0:1], s[0:1], v[40:41]
	v_mul_f64_e32 v[2:3], s[0:1], v[42:43]
	v_add_co_u32 v4, vcc_lo, v4, s2
	s_wait_alu 0xfffd
	v_add_co_ci_u32_e32 v5, vcc_lo, s3, v5, vcc_lo
	s_delay_alu instid0(VALU_DEP_2) | instskip(SKIP_1) | instid1(VALU_DEP_2)
	v_add_co_u32 v8, vcc_lo, v4, s2
	s_wait_alu 0xfffd
	v_add_co_ci_u32_e32 v9, vcc_lo, s3, v5, vcc_lo
	global_store_b128 v[4:5], v[0:3], off
	v_mul_f64_e32 v[0:1], s[0:1], v[44:45]
	v_mul_f64_e32 v[2:3], s[0:1], v[46:47]
	;; [unrolled: 1-line block ×3, first 2 shown]
	global_store_b128 v[8:9], v[0:3], off
	v_mul_f64_e32 v[0:1], s[0:1], v[48:49]
	v_mul_f64_e32 v[2:3], s[0:1], v[50:51]
	v_add_co_u32 v8, vcc_lo, v8, s2
	s_wait_alu 0xfffd
	v_add_co_ci_u32_e32 v9, vcc_lo, s3, v9, vcc_lo
	s_delay_alu instid0(VALU_DEP_2) | instskip(SKIP_1) | instid1(VALU_DEP_2)
	v_add_co_u32 v36, vcc_lo, v8, s2
	s_wait_alu 0xfffd
	v_add_co_ci_u32_e32 v37, vcc_lo, s3, v9, vcc_lo
	s_delay_alu instid0(VALU_DEP_2) | instskip(SKIP_1) | instid1(VALU_DEP_2)
	v_add_co_u32 v38, vcc_lo, v36, s2
	s_wait_alu 0xfffd
	v_add_co_ci_u32_e32 v39, vcc_lo, s3, v37, vcc_lo
	s_delay_alu instid0(VALU_DEP_1) | instskip(NEXT) | instid1(VALU_DEP_1)
	v_mad_co_u64_u32 v[40:41], null, 0xfffff500, s4, v[38:39]
	v_add_nc_u32_e32 v41, s5, v41
	s_delay_alu instid0(VALU_DEP_2) | instskip(SKIP_1) | instid1(VALU_DEP_2)
	v_add_co_u32 v42, vcc_lo, v40, s2
	s_wait_alu 0xfffd
	v_add_co_ci_u32_e32 v43, vcc_lo, s3, v41, vcc_lo
	global_store_b128 v[8:9], v[0:3], off
	v_mul_f64_e32 v[0:1], s[0:1], v[60:61]
	v_mul_f64_e32 v[2:3], s[0:1], v[52:53]
	;; [unrolled: 1-line block ×3, first 2 shown]
	global_store_b128 v[36:37], v[4:7], off
	v_add_co_u32 v4, vcc_lo, v42, s2
	s_wait_alu 0xfffd
	v_add_co_ci_u32_e32 v5, vcc_lo, s3, v43, vcc_lo
	s_delay_alu instid0(VALU_DEP_2) | instskip(SKIP_1) | instid1(VALU_DEP_2)
	v_add_co_u32 v6, vcc_lo, v4, s2
	s_wait_alu 0xfffd
	v_add_co_ci_u32_e32 v7, vcc_lo, s3, v5, vcc_lo
	s_delay_alu instid0(VALU_DEP_2) | instskip(SKIP_1) | instid1(VALU_DEP_2)
	v_add_co_u32 v36, vcc_lo, v6, s2
	s_wait_alu 0xfffd
	v_add_co_ci_u32_e32 v37, vcc_lo, s3, v7, vcc_lo
	global_store_b128 v[38:39], v[0:3], off
	v_add_co_u32 v0, vcc_lo, v36, s2
	s_wait_alu 0xfffd
	v_add_co_ci_u32_e32 v1, vcc_lo, s3, v37, vcc_lo
	s_delay_alu instid0(VALU_DEP_2) | instskip(SKIP_1) | instid1(VALU_DEP_2)
	v_add_co_u32 v2, vcc_lo, v0, s2
	s_wait_alu 0xfffd
	v_add_co_ci_u32_e32 v3, vcc_lo, s3, v1, vcc_lo
	global_store_b128 v[40:41], v[8:11], off
	global_store_b128 v[42:43], v[12:15], off
	global_store_b128 v[4:5], v[16:19], off
	global_store_b128 v[6:7], v[20:23], off
	global_store_b128 v[36:37], v[24:27], off
	global_store_b128 v[0:1], v[28:31], off
	global_store_b128 v[2:3], v[32:35], off
.LBB0_2:
	s_nop 0
	s_sendmsg sendmsg(MSG_DEALLOC_VGPRS)
	s_endpgm
	.section	.rodata,"a",@progbits
	.p2align	6, 0x0
	.amdhsa_kernel bluestein_single_back_len224_dim1_dp_op_CI_CI
		.amdhsa_group_segment_fixed_size 14336
		.amdhsa_private_segment_fixed_size 220
		.amdhsa_kernarg_size 104
		.amdhsa_user_sgpr_count 2
		.amdhsa_user_sgpr_dispatch_ptr 0
		.amdhsa_user_sgpr_queue_ptr 0
		.amdhsa_user_sgpr_kernarg_segment_ptr 1
		.amdhsa_user_sgpr_dispatch_id 0
		.amdhsa_user_sgpr_private_segment_size 0
		.amdhsa_wavefront_size32 1
		.amdhsa_uses_dynamic_stack 0
		.amdhsa_enable_private_segment 1
		.amdhsa_system_sgpr_workgroup_id_x 1
		.amdhsa_system_sgpr_workgroup_id_y 0
		.amdhsa_system_sgpr_workgroup_id_z 0
		.amdhsa_system_sgpr_workgroup_info 0
		.amdhsa_system_vgpr_workitem_id 0
		.amdhsa_next_free_vgpr 256
		.amdhsa_next_free_sgpr 32
		.amdhsa_reserve_vcc 1
		.amdhsa_float_round_mode_32 0
		.amdhsa_float_round_mode_16_64 0
		.amdhsa_float_denorm_mode_32 3
		.amdhsa_float_denorm_mode_16_64 3
		.amdhsa_fp16_overflow 0
		.amdhsa_workgroup_processor_mode 1
		.amdhsa_memory_ordered 1
		.amdhsa_forward_progress 0
		.amdhsa_round_robin_scheduling 0
		.amdhsa_exception_fp_ieee_invalid_op 0
		.amdhsa_exception_fp_denorm_src 0
		.amdhsa_exception_fp_ieee_div_zero 0
		.amdhsa_exception_fp_ieee_overflow 0
		.amdhsa_exception_fp_ieee_underflow 0
		.amdhsa_exception_fp_ieee_inexact 0
		.amdhsa_exception_int_div_zero 0
	.end_amdhsa_kernel
	.text
.Lfunc_end0:
	.size	bluestein_single_back_len224_dim1_dp_op_CI_CI, .Lfunc_end0-bluestein_single_back_len224_dim1_dp_op_CI_CI
                                        ; -- End function
	.section	.AMDGPU.csdata,"",@progbits
; Kernel info:
; codeLenInByte = 16768
; NumSgprs: 34
; NumVgprs: 256
; ScratchSize: 220
; MemoryBound: 0
; FloatMode: 240
; IeeeMode: 1
; LDSByteSize: 14336 bytes/workgroup (compile time only)
; SGPRBlocks: 4
; VGPRBlocks: 31
; NumSGPRsForWavesPerEU: 34
; NumVGPRsForWavesPerEU: 256
; Occupancy: 5
; WaveLimiterHint : 1
; COMPUTE_PGM_RSRC2:SCRATCH_EN: 1
; COMPUTE_PGM_RSRC2:USER_SGPR: 2
; COMPUTE_PGM_RSRC2:TRAP_HANDLER: 0
; COMPUTE_PGM_RSRC2:TGID_X_EN: 1
; COMPUTE_PGM_RSRC2:TGID_Y_EN: 0
; COMPUTE_PGM_RSRC2:TGID_Z_EN: 0
; COMPUTE_PGM_RSRC2:TIDIG_COMP_CNT: 0
	.text
	.p2alignl 7, 3214868480
	.fill 96, 4, 3214868480
	.type	__hip_cuid_b7bc893fe4250240,@object ; @__hip_cuid_b7bc893fe4250240
	.section	.bss,"aw",@nobits
	.globl	__hip_cuid_b7bc893fe4250240
__hip_cuid_b7bc893fe4250240:
	.byte	0                               ; 0x0
	.size	__hip_cuid_b7bc893fe4250240, 1

	.ident	"AMD clang version 19.0.0git (https://github.com/RadeonOpenCompute/llvm-project roc-6.4.0 25133 c7fe45cf4b819c5991fe208aaa96edf142730f1d)"
	.section	".note.GNU-stack","",@progbits
	.addrsig
	.addrsig_sym __hip_cuid_b7bc893fe4250240
	.amdgpu_metadata
---
amdhsa.kernels:
  - .args:
      - .actual_access:  read_only
        .address_space:  global
        .offset:         0
        .size:           8
        .value_kind:     global_buffer
      - .actual_access:  read_only
        .address_space:  global
        .offset:         8
        .size:           8
        .value_kind:     global_buffer
      - .actual_access:  read_only
        .address_space:  global
        .offset:         16
        .size:           8
        .value_kind:     global_buffer
      - .actual_access:  read_only
        .address_space:  global
        .offset:         24
        .size:           8
        .value_kind:     global_buffer
      - .actual_access:  read_only
        .address_space:  global
        .offset:         32
        .size:           8
        .value_kind:     global_buffer
      - .offset:         40
        .size:           8
        .value_kind:     by_value
      - .address_space:  global
        .offset:         48
        .size:           8
        .value_kind:     global_buffer
      - .address_space:  global
        .offset:         56
        .size:           8
        .value_kind:     global_buffer
      - .address_space:  global
        .offset:         64
        .size:           8
        .value_kind:     global_buffer
      - .address_space:  global
        .offset:         72
        .size:           8
        .value_kind:     global_buffer
      - .offset:         80
        .size:           4
        .value_kind:     by_value
      - .address_space:  global
        .offset:         88
        .size:           8
        .value_kind:     global_buffer
      - .address_space:  global
        .offset:         96
        .size:           8
        .value_kind:     global_buffer
    .group_segment_fixed_size: 14336
    .kernarg_segment_align: 8
    .kernarg_segment_size: 104
    .language:       OpenCL C
    .language_version:
      - 2
      - 0
    .max_flat_workgroup_size: 64
    .name:           bluestein_single_back_len224_dim1_dp_op_CI_CI
    .private_segment_fixed_size: 220
    .sgpr_count:     34
    .sgpr_spill_count: 0
    .symbol:         bluestein_single_back_len224_dim1_dp_op_CI_CI.kd
    .uniform_work_group_size: 1
    .uses_dynamic_stack: false
    .vgpr_count:     256
    .vgpr_spill_count: 54
    .wavefront_size: 32
    .workgroup_processor_mode: 1
amdhsa.target:   amdgcn-amd-amdhsa--gfx1201
amdhsa.version:
  - 1
  - 2
...

	.end_amdgpu_metadata
